;; amdgpu-corpus repo=ROCm/rocFFT kind=compiled arch=gfx950 opt=O3
	.text
	.amdgcn_target "amdgcn-amd-amdhsa--gfx950"
	.amdhsa_code_object_version 6
	.protected	fft_rtc_fwd_len1859_factors_13_11_13_wgs_169_tpt_169_halfLds_sp_op_CI_CI_sbrr_dirReg ; -- Begin function fft_rtc_fwd_len1859_factors_13_11_13_wgs_169_tpt_169_halfLds_sp_op_CI_CI_sbrr_dirReg
	.globl	fft_rtc_fwd_len1859_factors_13_11_13_wgs_169_tpt_169_halfLds_sp_op_CI_CI_sbrr_dirReg
	.p2align	8
	.type	fft_rtc_fwd_len1859_factors_13_11_13_wgs_169_tpt_169_halfLds_sp_op_CI_CI_sbrr_dirReg,@function
fft_rtc_fwd_len1859_factors_13_11_13_wgs_169_tpt_169_halfLds_sp_op_CI_CI_sbrr_dirReg: ; @fft_rtc_fwd_len1859_factors_13_11_13_wgs_169_tpt_169_halfLds_sp_op_CI_CI_sbrr_dirReg
; %bb.0:
	s_load_dwordx4 s[12:15], s[0:1], 0x18
	s_load_dwordx4 s[8:11], s[0:1], 0x0
	;; [unrolled: 1-line block ×3, first 2 shown]
	v_mul_u32_u24_e32 v1, 0x184, v0
	v_add_u32_sdwa v10, s2, v1 dst_sel:DWORD dst_unused:UNUSED_PAD src0_sel:DWORD src1_sel:WORD_1
	s_waitcnt lgkmcnt(0)
	s_load_dwordx2 s[18:19], s[12:13], 0x0
	s_load_dwordx2 s[16:17], s[14:15], 0x0
	v_mov_b32_e32 v6, 0
	v_cmp_lt_u64_e64 s[2:3], s[10:11], 2
	v_mov_b32_e32 v11, v6
	s_and_b64 vcc, exec, s[2:3]
	v_mov_b64_e32 v[8:9], 0
	s_cbranch_vccnz .LBB0_8
; %bb.1:
	s_load_dwordx2 s[2:3], s[0:1], 0x10
	s_add_u32 s20, s14, 8
	s_addc_u32 s21, s15, 0
	s_add_u32 s22, s12, 8
	s_addc_u32 s23, s13, 0
	s_waitcnt lgkmcnt(0)
	s_add_u32 s24, s2, 8
	v_mov_b64_e32 v[8:9], 0
	s_addc_u32 s25, s3, 0
	s_mov_b64 s[26:27], 1
	v_mov_b64_e32 v[2:3], v[8:9]
.LBB0_2:                                ; =>This Inner Loop Header: Depth=1
	s_load_dwordx2 s[28:29], s[24:25], 0x0
                                        ; implicit-def: $vgpr4_vgpr5
	s_waitcnt lgkmcnt(0)
	v_or_b32_e32 v7, s29, v11
	v_cmp_ne_u64_e32 vcc, 0, v[6:7]
	s_and_saveexec_b64 s[2:3], vcc
	s_xor_b64 s[30:31], exec, s[2:3]
	s_cbranch_execz .LBB0_4
; %bb.3:                                ;   in Loop: Header=BB0_2 Depth=1
	v_cvt_f32_u32_e32 v1, s28
	v_cvt_f32_u32_e32 v4, s29
	s_sub_u32 s2, 0, s28
	s_subb_u32 s3, 0, s29
	v_fmac_f32_e32 v1, 0x4f800000, v4
	v_rcp_f32_e32 v1, v1
	s_nop 0
	v_mul_f32_e32 v1, 0x5f7ffffc, v1
	v_mul_f32_e32 v4, 0x2f800000, v1
	v_trunc_f32_e32 v4, v4
	v_fmac_f32_e32 v1, 0xcf800000, v4
	v_cvt_u32_f32_e32 v7, v4
	v_cvt_u32_f32_e32 v1, v1
	v_mul_lo_u32 v4, s2, v7
	v_mul_hi_u32 v12, s2, v1
	v_mul_lo_u32 v5, s3, v1
	v_add_u32_e32 v12, v12, v4
	v_mul_lo_u32 v14, s2, v1
	v_add_u32_e32 v15, v12, v5
	v_mul_hi_u32 v4, v1, v14
	v_mul_hi_u32 v13, v1, v15
	v_mul_lo_u32 v12, v1, v15
	v_mov_b32_e32 v5, v6
	v_lshl_add_u64 v[4:5], v[4:5], 0, v[12:13]
	v_mul_hi_u32 v13, v7, v14
	v_mul_lo_u32 v14, v7, v14
	v_add_co_u32_e32 v4, vcc, v4, v14
	v_mul_hi_u32 v12, v7, v15
	s_nop 0
	v_addc_co_u32_e32 v4, vcc, v5, v13, vcc
	v_mov_b32_e32 v5, v6
	s_nop 0
	v_addc_co_u32_e32 v13, vcc, 0, v12, vcc
	v_mul_lo_u32 v12, v7, v15
	v_lshl_add_u64 v[4:5], v[4:5], 0, v[12:13]
	v_add_co_u32_e32 v1, vcc, v1, v4
	v_mul_lo_u32 v12, s2, v1
	s_nop 0
	v_addc_co_u32_e32 v7, vcc, v7, v5, vcc
	v_mul_lo_u32 v4, s2, v7
	v_mul_hi_u32 v5, s2, v1
	v_add_u32_e32 v4, v5, v4
	v_mul_lo_u32 v5, s3, v1
	v_add_u32_e32 v14, v4, v5
	v_mul_hi_u32 v16, v7, v12
	v_mul_lo_u32 v17, v7, v12
	v_mul_hi_u32 v5, v1, v14
	v_mul_lo_u32 v4, v1, v14
	v_mul_hi_u32 v12, v1, v12
	v_mov_b32_e32 v13, v6
	v_lshl_add_u64 v[4:5], v[12:13], 0, v[4:5]
	v_add_co_u32_e32 v4, vcc, v4, v17
	v_mul_hi_u32 v15, v7, v14
	s_nop 0
	v_addc_co_u32_e32 v4, vcc, v5, v16, vcc
	v_mul_lo_u32 v12, v7, v14
	s_nop 0
	v_addc_co_u32_e32 v13, vcc, 0, v15, vcc
	v_mov_b32_e32 v5, v6
	v_lshl_add_u64 v[4:5], v[4:5], 0, v[12:13]
	v_add_co_u32_e32 v1, vcc, v1, v4
	v_mul_hi_u32 v12, v10, v1
	s_nop 0
	v_addc_co_u32_e32 v7, vcc, v7, v5, vcc
	v_mad_u64_u32 v[4:5], s[2:3], v10, v7, 0
	v_mov_b32_e32 v13, v6
	v_lshl_add_u64 v[4:5], v[12:13], 0, v[4:5]
	v_mad_u64_u32 v[14:15], s[2:3], v11, v1, 0
	v_add_co_u32_e32 v1, vcc, v4, v14
	v_mad_u64_u32 v[12:13], s[2:3], v11, v7, 0
	s_nop 0
	v_addc_co_u32_e32 v4, vcc, v5, v15, vcc
	v_mov_b32_e32 v5, v6
	s_nop 0
	v_addc_co_u32_e32 v13, vcc, 0, v13, vcc
	v_lshl_add_u64 v[4:5], v[4:5], 0, v[12:13]
	v_mul_lo_u32 v1, s29, v4
	v_mul_lo_u32 v7, s28, v5
	v_mad_u64_u32 v[12:13], s[2:3], s28, v4, 0
	v_add3_u32 v1, v13, v7, v1
	v_sub_u32_e32 v7, v11, v1
	v_mov_b32_e32 v13, s29
	v_sub_co_u32_e32 v16, vcc, v10, v12
	v_lshl_add_u64 v[14:15], v[4:5], 0, 1
	s_nop 0
	v_subb_co_u32_e64 v7, s[2:3], v7, v13, vcc
	v_subrev_co_u32_e64 v12, s[2:3], s28, v16
	v_subb_co_u32_e32 v1, vcc, v11, v1, vcc
	s_nop 0
	v_subbrev_co_u32_e64 v7, s[2:3], 0, v7, s[2:3]
	v_cmp_le_u32_e64 s[2:3], s29, v7
	v_cmp_le_u32_e32 vcc, s29, v1
	s_nop 0
	v_cndmask_b32_e64 v13, 0, -1, s[2:3]
	v_cmp_le_u32_e64 s[2:3], s28, v12
	s_nop 1
	v_cndmask_b32_e64 v12, 0, -1, s[2:3]
	v_cmp_eq_u32_e64 s[2:3], s29, v7
	s_nop 1
	v_cndmask_b32_e64 v7, v13, v12, s[2:3]
	v_lshl_add_u64 v[12:13], v[4:5], 0, 2
	v_cmp_ne_u32_e64 s[2:3], 0, v7
	s_nop 1
	v_cndmask_b32_e64 v7, v15, v13, s[2:3]
	v_cndmask_b32_e64 v13, 0, -1, vcc
	v_cmp_le_u32_e32 vcc, s28, v16
	s_nop 1
	v_cndmask_b32_e64 v15, 0, -1, vcc
	v_cmp_eq_u32_e32 vcc, s29, v1
	s_nop 1
	v_cndmask_b32_e32 v1, v13, v15, vcc
	v_cmp_ne_u32_e32 vcc, 0, v1
	v_cndmask_b32_e64 v1, v14, v12, s[2:3]
	s_nop 0
	v_cndmask_b32_e32 v5, v5, v7, vcc
	v_cndmask_b32_e32 v4, v4, v1, vcc
.LBB0_4:                                ;   in Loop: Header=BB0_2 Depth=1
	s_andn2_saveexec_b64 s[2:3], s[30:31]
	s_cbranch_execz .LBB0_6
; %bb.5:                                ;   in Loop: Header=BB0_2 Depth=1
	v_cvt_f32_u32_e32 v1, s28
	s_sub_i32 s30, 0, s28
	v_rcp_iflag_f32_e32 v1, v1
	s_nop 0
	v_mul_f32_e32 v1, 0x4f7ffffe, v1
	v_cvt_u32_f32_e32 v1, v1
	v_mul_lo_u32 v4, s30, v1
	v_mul_hi_u32 v4, v1, v4
	v_add_u32_e32 v1, v1, v4
	v_mul_hi_u32 v1, v10, v1
	v_mul_lo_u32 v4, v1, s28
	v_sub_u32_e32 v4, v10, v4
	v_add_u32_e32 v5, 1, v1
	v_subrev_u32_e32 v7, s28, v4
	v_cmp_le_u32_e32 vcc, s28, v4
	s_nop 1
	v_cndmask_b32_e32 v4, v4, v7, vcc
	v_cndmask_b32_e32 v1, v1, v5, vcc
	v_add_u32_e32 v5, 1, v1
	v_cmp_le_u32_e32 vcc, s28, v4
	s_nop 1
	v_cndmask_b32_e32 v4, v1, v5, vcc
	v_mov_b32_e32 v5, v6
.LBB0_6:                                ;   in Loop: Header=BB0_2 Depth=1
	s_or_b64 exec, exec, s[2:3]
	v_mad_u64_u32 v[12:13], s[2:3], v4, s28, 0
	s_load_dwordx2 s[2:3], s[22:23], 0x0
	v_mul_lo_u32 v1, v5, s28
	v_mul_lo_u32 v7, v4, s29
	s_load_dwordx2 s[28:29], s[20:21], 0x0
	s_add_u32 s26, s26, 1
	v_add3_u32 v1, v13, v7, v1
	v_sub_co_u32_e32 v7, vcc, v10, v12
	s_addc_u32 s27, s27, 0
	s_nop 0
	v_subb_co_u32_e32 v1, vcc, v11, v1, vcc
	s_add_u32 s20, s20, 8
	s_waitcnt lgkmcnt(0)
	v_mul_lo_u32 v10, s2, v1
	v_mul_lo_u32 v11, s3, v7
	v_mad_u64_u32 v[8:9], s[2:3], s2, v7, v[8:9]
	s_addc_u32 s21, s21, 0
	v_add3_u32 v9, v11, v9, v10
	v_mul_lo_u32 v1, s28, v1
	v_mul_lo_u32 v10, s29, v7
	v_mad_u64_u32 v[2:3], s[2:3], s28, v7, v[2:3]
	s_add_u32 s22, s22, 8
	v_add3_u32 v3, v10, v3, v1
	s_addc_u32 s23, s23, 0
	v_mov_b64_e32 v[10:11], s[10:11]
	s_add_u32 s24, s24, 8
	v_cmp_ge_u64_e32 vcc, s[26:27], v[10:11]
	s_addc_u32 s25, s25, 0
	s_cbranch_vccnz .LBB0_9
; %bb.7:                                ;   in Loop: Header=BB0_2 Depth=1
	v_mov_b64_e32 v[10:11], v[4:5]
	s_branch .LBB0_2
.LBB0_8:
	v_mov_b64_e32 v[2:3], v[8:9]
	v_mov_b64_e32 v[4:5], v[10:11]
.LBB0_9:
	s_load_dwordx2 s[0:1], s[0:1], 0x28
	s_mov_b32 s22, 0x183c978
	v_mul_hi_u32 v1, v0, s22
	v_mul_u32_u24_e32 v1, 0xa9, v1
	v_sub_u32_e32 v84, v0, v1
	s_waitcnt lgkmcnt(0)
	v_cmp_gt_u64_e64 s[2:3], s[0:1], v[4:5]
	s_movk_i32 s0, 0x8e
	s_lshl_b64 s[20:21], s[10:11], 3
	v_cmp_lt_u32_e32 vcc, s0, v84
	s_movk_i32 s0, 0x8f
	s_add_u32 s10, s14, s20
	v_cmp_gt_u32_e64 s[0:1], s0, v84
	s_addc_u32 s11, s15, s21
	s_and_b64 s[2:3], s[2:3], s[0:1]
	v_mov_b32_e32 v41, 0
	v_mov_b32_e32 v7, 0
                                        ; implicit-def: $vgpr18
                                        ; implicit-def: $vgpr20
                                        ; implicit-def: $vgpr22
                                        ; implicit-def: $vgpr36
                                        ; implicit-def: $vgpr38
                                        ; implicit-def: $vgpr12
                                        ; implicit-def: $vgpr14
                                        ; implicit-def: $vgpr10
                                        ; implicit-def: $vgpr16
                                        ; implicit-def: $vgpr24
                                        ; implicit-def: $vgpr30
	s_and_saveexec_b64 s[14:15], s[2:3]
	s_cbranch_execz .LBB0_11
; %bb.10:
	s_add_u32 s12, s12, s20
	s_addc_u32 s13, s13, s21
	s_load_dwordx2 s[12:13], s[12:13], 0x0
	v_add_u32_e32 v13, 0x11e, v84
	v_add_u32_e32 v15, 0x1ad, v84
	s_waitcnt lgkmcnt(0)
	v_mul_lo_u32 v6, s13, v4
	v_mul_lo_u32 v7, s12, v5
	v_mad_u64_u32 v[0:1], s[12:13], s12, v4, 0
	v_add3_u32 v1, v1, v7, v6
	v_mad_u64_u32 v[6:7], s[12:13], s18, v84, 0
	v_mov_b32_e32 v10, v7
	v_mad_u64_u32 v[10:11], s[12:13], s19, v84, v[10:11]
	v_lshl_add_u64 v[0:1], v[0:1], 3, s[4:5]
	v_add_u32_e32 v11, 0x8f, v84
	v_lshl_add_u64 v[0:1], v[8:9], 3, v[0:1]
	v_mad_u64_u32 v[8:9], s[4:5], s18, v11, 0
	v_mov_b32_e32 v7, v10
	v_mov_b32_e32 v10, v9
	v_mad_u64_u32 v[10:11], s[4:5], s19, v11, v[10:11]
	v_mov_b32_e32 v9, v10
	v_mad_u64_u32 v[10:11], s[4:5], s18, v13, 0
	;; [unrolled: 2-line block ×5, first 2 shown]
	v_lshl_add_u64 v[6:7], v[6:7], 3, v[0:1]
	v_lshl_add_u64 v[8:9], v[8:9], 3, v[0:1]
	v_mov_b32_e32 v13, v14
	v_lshl_add_u64 v[10:11], v[10:11], 3, v[0:1]
	v_lshl_add_u64 v[12:13], v[12:13], 3, v[0:1]
	global_load_dwordx2 v[26:27], v[6:7], off
	global_load_dwordx2 v[18:19], v[8:9], off
	;; [unrolled: 1-line block ×4, first 2 shown]
	v_add_u32_e32 v9, 0x23c, v84
	v_mad_u64_u32 v[6:7], s[4:5], s18, v9, 0
	v_mov_b32_e32 v8, v7
	v_mad_u64_u32 v[8:9], s[4:5], s19, v9, v[8:9]
	v_mov_b32_e32 v7, v8
	v_add_u32_e32 v11, 0x2cb, v84
	v_lshl_add_u64 v[8:9], v[6:7], 3, v[0:1]
	v_mad_u64_u32 v[6:7], s[4:5], s18, v11, 0
	v_mov_b32_e32 v10, v7
	v_mad_u64_u32 v[10:11], s[4:5], s19, v11, v[10:11]
	v_mov_b32_e32 v7, v10
	v_add_u32_e32 v13, 0x35a, v84
	v_lshl_add_u64 v[10:11], v[6:7], 3, v[0:1]
	v_mad_u64_u32 v[6:7], s[4:5], s18, v13, 0
	v_mov_b32_e32 v12, v7
	v_mad_u64_u32 v[12:13], s[4:5], s19, v13, v[12:13]
	v_mov_b32_e32 v7, v12
	v_add_u32_e32 v13, 0x3e9, v84
	v_lshl_add_u64 v[14:15], v[6:7], 3, v[0:1]
	v_mad_u64_u32 v[6:7], s[4:5], s18, v13, 0
	v_mov_b32_e32 v12, v7
	v_mad_u64_u32 v[12:13], s[4:5], s19, v13, v[12:13]
	v_mov_b32_e32 v7, v12
	v_lshl_add_u64 v[16:17], v[6:7], 3, v[0:1]
	global_load_dwordx2 v[36:37], v[8:9], off
	global_load_dwordx2 v[38:39], v[10:11], off
	;; [unrolled: 1-line block ×4, first 2 shown]
	v_add_u32_e32 v11, 0x478, v84
	v_mad_u64_u32 v[8:9], s[4:5], s18, v11, 0
	v_mov_b32_e32 v10, v9
	v_mad_u64_u32 v[10:11], s[4:5], s19, v11, v[10:11]
	v_add_u32_e32 v15, 0x507, v84
	v_mov_b32_e32 v9, v10
	v_mad_u64_u32 v[10:11], s[4:5], s18, v15, 0
	v_mov_b32_e32 v14, v11
	v_mad_u64_u32 v[14:15], s[4:5], s19, v15, v[14:15]
	v_mov_b32_e32 v11, v14
	v_add_u32_e32 v17, 0x596, v84
	v_lshl_add_u64 v[14:15], v[10:11], 3, v[0:1]
	v_mad_u64_u32 v[10:11], s[4:5], s18, v17, 0
	v_mov_b32_e32 v16, v11
	v_mad_u64_u32 v[16:17], s[4:5], s19, v17, v[16:17]
	v_mov_b32_e32 v11, v16
	v_add_u32_e32 v17, 0x625, v84
	v_lshl_add_u64 v[28:29], v[10:11], 3, v[0:1]
	v_mad_u64_u32 v[10:11], s[4:5], s18, v17, 0
	v_mov_b32_e32 v16, v11
	v_mad_u64_u32 v[16:17], s[4:5], s19, v17, v[16:17]
	v_lshl_add_u64 v[8:9], v[8:9], 3, v[0:1]
	v_mov_b32_e32 v11, v16
	v_lshl_add_u64 v[32:33], v[10:11], 3, v[0:1]
	global_load_dwordx2 v[30:31], v[8:9], off
	global_load_dwordx2 v[24:25], v[14:15], off
	;; [unrolled: 1-line block ×4, first 2 shown]
	v_add_u32_e32 v15, 0x6b4, v84
	v_mad_u64_u32 v[8:9], s[4:5], s18, v15, 0
	v_mov_b32_e32 v14, v9
	v_mad_u64_u32 v[14:15], s[4:5], s19, v15, v[14:15]
	v_mov_b32_e32 v9, v14
	v_lshl_add_u64 v[0:1], v[8:9], 3, v[0:1]
	global_load_dwordx2 v[14:15], v[0:1], off
	s_waitcnt vmcnt(12)
	v_mov_b32_e32 v41, v27
	s_waitcnt vmcnt(5)
	v_mov_b32_e32 v40, v7
	v_mov_b32_e32 v7, v26
.LBB0_11:
	s_or_b64 exec, exec, s[14:15]
	s_mov_b32 s4, 0x3f116cb1
	s_waitcnt vmcnt(0)
	v_pk_add_f32 v[54:55], v[18:19], v[14:15]
	s_mov_b32 s5, 0x3f62ad3f
	s_mov_b32 s24, 0xbf52af12
	v_pk_add_f32 v[44:45], v[18:19], v[14:15] neg_lo:[0,1] neg_hi:[0,1]
	v_pk_add_f32 v[52:53], v[20:21], v[10:11]
	v_pk_mul_f32 v[58:59], v[54:55], s[4:5] op_sel_hi:[0,1]
	s_mov_b32 s25, 0xbeedf032
	s_mov_b32 s12, 0xbeb58ec6
	;; [unrolled: 1-line block ×4, first 2 shown]
	v_pk_add_f32 v[34:35], v[20:21], v[10:11] neg_lo:[0,1] neg_hi:[0,1]
	v_pk_add_f32 v[50:51], v[22:23], v[16:17]
	v_pk_fma_f32 v[0:1], v[44:45], s[24:25], v[58:59] op_sel:[1,0,0]
	v_mov_b32_e32 v8, v7
	v_pk_mul_f32 v[64:65], v[52:53], s[12:13] op_sel_hi:[0,1]
	s_mov_b32 s26, 0xbf6f5d39
	s_mov_b32 s27, s24
	s_mov_b32 s15, 0x3df6dbef
	s_mov_b32 s28, 0xbe750f2a
	v_pk_add_f32 v[32:33], v[22:23], v[16:17] neg_lo:[0,1] neg_hi:[0,1]
	v_pk_add_f32 v[48:49], v[36:37], v[24:25]
	v_pk_add_f32 v[0:1], v[8:9], v[0:1] op_sel_hi:[0,1]
	v_pk_fma_f32 v[8:9], v[34:35], s[26:27], v[64:65] op_sel:[1,0,0]
	v_pk_mul_f32 v[60:61], v[50:51], s[14:15] op_sel_hi:[0,1]
	s_mov_b32 s29, 0xbf7e222b
	s_mov_b32 s20, 0xbf3f9e67
	;; [unrolled: 1-line block ×3, first 2 shown]
	v_pk_add_f32 v[28:29], v[36:37], v[24:25] neg_lo:[0,1] neg_hi:[0,1]
	v_pk_add_f32 v[46:47], v[38:39], v[30:31]
	v_pk_add_f32 v[0:1], v[0:1], v[8:9]
	v_pk_fma_f32 v[8:9], v[32:33], s[28:29], v[60:61] op_sel:[1,0,0]
	v_pk_mul_f32 v[66:67], v[48:49], s[20:21] op_sel_hi:[0,1]
	s_mov_b32 s30, 0x3f29c268
	s_mov_b32 s31, s26
	;; [unrolled: 1-line block ×5, first 2 shown]
	v_pk_add_f32 v[26:27], v[38:39], v[30:31] neg_lo:[0,1] neg_hi:[0,1]
	v_pk_add_f32 v[0:1], v[0:1], v[8:9]
	v_pk_fma_f32 v[8:9], v[28:29], s[30:31], v[66:67] op_sel:[1,0,0]
	v_pk_mul_f32 v[62:63], v[46:47], s[18:19] op_sel_hi:[0,1]
	s_mov_b32 s35, 0xbf29c268
	v_pk_add_f32 v[0:1], v[0:1], v[8:9]
	v_pk_fma_f32 v[8:9], v[26:27], s[34:35], v[62:63] op_sel:[1,0,0]
	s_mov_b32 s22, s5
	v_pk_add_f32 v[0:1], v[0:1], v[8:9]
	v_mov_b32_e32 v8, v13
	s_mov_b32 s23, s14
	v_pk_add_f32 v[56:57], v[12:13], v[6:7]
	v_pk_add_f32 v[42:43], v[8:9], v[40:41] op_sel_hi:[0,1] neg_lo:[0,1] neg_hi:[0,1]
	s_mov_b32 s36, 0x3eedf032
	s_mov_b32 s37, s28
	v_pk_mul_f32 v[68:69], v[56:57], s[22:23] op_sel_hi:[0,1]
	v_pk_fma_f32 v[8:9], v[42:43], s[36:37], v[68:69] op_sel_hi:[0,1,1]
	v_pk_add_f32 v[0:1], v[0:1], v[8:9]
	v_mov_b32_e32 v8, v13
	v_mov_b32_e32 v9, v13
	s_and_saveexec_b64 s[38:39], s[0:1]
	s_cbranch_execz .LBB0_13
; %bb.12:
	v_mov_b32_e32 v72, v7
	v_pk_add_f32 v[72:73], v[72:73], v[18:19]
	v_pk_mul_f32 v[70:71], v[44:45], s[24:25] op_sel:[1,0]
	v_pk_add_f32 v[72:73], v[72:73], v[20:21]
	v_pk_add_f32 v[74:75], v[58:59], v[70:71] neg_lo:[0,1] neg_hi:[0,1]
	v_pk_add_f32 v[72:73], v[72:73], v[22:23]
	v_mul_f32_e32 v71, 0xbf7e222b, v45
	v_pk_add_f32 v[72:73], v[72:73], v[36:37]
	v_mul_f32_e32 v85, 0xbeb58ec6, v50
	;; [unrolled: 2-line block ×4, first 2 shown]
	v_mov_b32_e32 v73, v75
	v_pk_mul_f32 v[74:75], v[34:35], s[26:27] op_sel:[1,0]
	v_pk_add_f32 v[72:73], v[72:73], v[6:7]
	v_pk_add_f32 v[76:77], v[64:65], v[74:75] neg_lo:[0,1] neg_hi:[0,1]
	v_mul_f32_e32 v75, 0xbe750f2a, v35
	v_mov_b32_e32 v76, v30
	v_pk_add_f32 v[72:73], v[76:77], v[72:73]
	v_pk_mul_f32 v[76:77], v[32:33], s[28:29] op_sel:[1,0]
	v_mul_f32_e32 v30, 0xbf788fa5, v52
	v_pk_add_f32 v[78:79], v[60:61], v[76:77] neg_lo:[0,1] neg_hi:[0,1]
	v_mov_b32_e32 v65, v30
	v_mov_b32_e32 v78, v24
	v_pk_add_f32 v[72:73], v[78:79], v[72:73]
	v_pk_mul_f32 v[78:79], v[28:29], s[30:31] op_sel:[1,0]
	v_mul_f32_e32 v24, 0x3df6dbef, v54
	v_pk_add_f32 v[80:81], v[66:67], v[78:79] neg_lo:[0,1] neg_hi:[0,1]
	v_mov_b32_e32 v59, v24
	v_mov_b32_e32 v80, v16
	v_pk_add_f32 v[72:73], v[80:81], v[72:73]
	v_pk_mul_f32 v[80:81], v[26:27], s[34:35] op_sel:[1,0]
	v_pk_add_f32 v[58:59], v[58:59], v[70:71] neg_lo:[0,1] neg_hi:[0,1]
	v_mov_b32_e32 v70, v7
	v_mov_b32_e32 v71, v7
	v_pk_add_f32 v[82:83], v[62:63], v[80:81] neg_lo:[0,1] neg_hi:[0,1]
	v_pk_add_f32 v[64:65], v[64:65], v[74:75] neg_lo:[0,1] neg_hi:[0,1]
	v_pk_add_f32 v[58:59], v[70:71], v[58:59]
	v_mul_f32_e32 v77, 0x3f6f5d39, v33
	v_mov_b32_e32 v61, v85
	v_mov_b32_e32 v82, v10
	v_pk_add_f32 v[58:59], v[58:59], v[64:65]
	v_pk_add_f32 v[60:61], v[60:61], v[76:77] neg_lo:[0,1] neg_hi:[0,1]
	v_mul_f32_e32 v79, 0x3eedf032, v29
	v_mov_b32_e32 v67, v92
	v_pk_add_f32 v[72:73], v[82:83], v[72:73]
	v_pk_mul_f32 v[82:83], v[42:43], s[36:37] op_sel_hi:[0,1]
	v_pk_add_f32 v[58:59], v[58:59], v[60:61]
	v_pk_add_f32 v[60:61], v[66:67], v[78:79] neg_lo:[0,1] neg_hi:[0,1]
	v_mul_f32_e32 v81, 0xbf52af12, v27
	v_mov_b32_e32 v63, v93
	v_mul_f32_e32 v43, 0xbf3f9e67, v56
	v_pk_add_f32 v[86:87], v[68:69], v[82:83] neg_lo:[0,1] neg_hi:[0,1]
	v_pk_add_f32 v[58:59], v[58:59], v[60:61]
	v_pk_add_f32 v[60:61], v[62:63], v[80:81] neg_lo:[0,1] neg_hi:[0,1]
	v_mul_f32_e32 v83, 0xbf29c268, v42
	v_mov_b32_e32 v69, v43
	v_pk_add_f32 v[58:59], v[58:59], v[60:61]
	v_mov_b32_e32 v60, v54
	v_mov_b32_e32 v61, v54
	v_pk_add_f32 v[62:63], v[68:69], v[82:83] neg_lo:[0,1] neg_hi:[0,1]
	s_mov_b32 s40, s12
	s_mov_b32 s41, s20
	v_mad_u32_u24 v16, v84, 52, 0
	v_mov_b32_e32 v64, v45
	v_mov_b32_e32 v65, v45
	v_pk_add_f32 v[58:59], v[58:59], v[62:63]
	v_mov_b32_e32 v62, v52
	v_mov_b32_e32 v63, v52
	v_pk_mul_f32 v[60:61], v[60:61], s[40:41]
	s_mov_b32 s40, s26
	s_mov_b32 s41, s35
	;; [unrolled: 1-line block ×4, first 2 shown]
	ds_write2_b32 v16, v58, v59 offset0:2 offset1:3
	v_mov_b32_e32 v58, v35
	v_mov_b32_e32 v59, v35
	v_pk_mul_f32 v[62:63], v[62:63], s[42:43]
	s_mov_b32 s42, s30
	s_mov_b32 s43, s34
	v_pk_fma_f32 v[66:67], v[64:65], s[40:41], v[60:61] neg_lo:[1,0,0] neg_hi:[1,0,0]
	v_mov_b32_e32 v86, v14
	v_pk_add_f32 v[66:67], v[70:71], v[66:67]
	v_pk_fma_f32 v[68:69], v[58:59], s[42:43], v[62:63] neg_lo:[1,0,0] neg_hi:[1,0,0]
	v_pk_add_f32 v[72:73], v[86:87], v[72:73]
	v_pk_add_f32 v[66:67], v[66:67], v[68:69]
	v_mov_b32_e32 v68, v50
	v_mov_b32_e32 v69, v50
	s_mov_b32 s44, s5
	s_mov_b32 s45, s4
	ds_write2_b32 v16, v72, v73 offset1:1
	v_mov_b32_e32 v72, v33
	v_mov_b32_e32 v73, v33
	v_pk_mul_f32 v[68:69], v[68:69], s[44:45]
	s_mov_b32 s44, s36
	s_mov_b32 s45, s24
	v_pk_fma_f32 v[74:75], v[72:73], s[44:45], v[68:69] neg_lo:[1,0,0] neg_hi:[1,0,0]
	s_mov_b32 s46, s15
	v_pk_add_f32 v[66:67], v[66:67], v[74:75]
	v_mov_b32_e32 v74, v48
	v_mov_b32_e32 v75, v48
	s_mov_b32 s47, s14
	v_mov_b32_e32 v76, v29
	v_mov_b32_e32 v77, v29
	v_pk_mul_f32 v[74:75], v[74:75], s[46:47]
	s_mov_b32 s47, 0x3e750f2a
	s_mov_b32 s46, s29
	v_pk_fma_f32 v[78:79], v[76:77], s[46:47], v[74:75] neg_lo:[1,0,0] neg_hi:[1,0,0]
	s_mov_b32 s48, s14
	v_pk_add_f32 v[66:67], v[66:67], v[78:79]
	v_mov_b32_e32 v78, v46
	v_mov_b32_e32 v79, v46
	s_mov_b32 s49, s5
	v_mov_b32_e32 v80, v27
	v_mov_b32_e32 v81, v27
	v_pk_mul_f32 v[78:79], v[78:79], s[48:49]
	s_mov_b32 s48, s47
	s_mov_b32 s49, s36
	v_pk_fma_f32 v[82:83], v[80:81], s[48:49], v[78:79] neg_lo:[1,0,0] neg_hi:[1,0,0]
	v_mov_b32_e32 v57, v56
	s_mov_b32 s52, s4
	s_mov_b32 s53, s12
	v_pk_add_f32 v[66:67], v[66:67], v[82:83]
	v_mov_b32_e32 v82, v42
	v_mov_b32_e32 v83, v42
	s_mov_b32 s50, 0x3f52af12
	s_mov_b32 s51, s26
	v_pk_mul_f32 v[86:87], v[56:57], s[52:53]
	v_mul_f32_e32 v10, 0xbf788fa5, v54
	v_pk_fma_f32 v[88:89], v[82:83], s[50:51], v[86:87] neg_lo:[1,0,0] neg_hi:[1,0,0]
	v_mul_f32_e32 v14, 0xbe750f2a, v45
	v_pk_add_f32 v[66:67], v[66:67], v[88:89]
	ds_write2_b32 v16, v66, v67 offset0:4 offset1:5
	v_pk_add_f32 v[66:67], v[10:11], v[14:15] neg_lo:[0,1] neg_hi:[0,1]
	v_pk_add_f32 v[88:89], v[10:11], v[14:15]
	v_mul_f32_e32 v10, 0x3f62ad3f, v52
	v_mul_f32_e32 v14, 0x3eedf032, v35
	v_mov_b32_e32 v67, v88
	v_pk_add_f32 v[88:89], v[10:11], v[14:15] neg_lo:[0,1] neg_hi:[0,1]
	v_pk_add_f32 v[90:91], v[10:11], v[14:15]
	v_pk_add_f32 v[66:67], v[70:71], v[66:67]
	v_mov_b32_e32 v89, v90
	v_mul_f32_e32 v10, 0xbf3f9e67, v50
	v_mul_f32_e32 v14, 0xbf29c268, v33
	v_pk_add_f32 v[66:67], v[66:67], v[88:89]
	v_pk_add_f32 v[88:89], v[10:11], v[14:15] neg_lo:[0,1] neg_hi:[0,1]
	v_pk_add_f32 v[90:91], v[10:11], v[14:15]
	v_mul_f32_e32 v10, 0x3f116cb1, v48
	v_mov_b32_e32 v89, v90
	v_mul_f32_e32 v14, 0x3f52af12, v29
	v_pk_add_f32 v[66:67], v[66:67], v[88:89]
	v_pk_add_f32 v[88:89], v[10:11], v[14:15] neg_lo:[0,1] neg_hi:[0,1]
	v_pk_add_f32 v[90:91], v[10:11], v[14:15]
	v_mul_f32_e32 v10, 0xbeb58ec6, v46
	v_mov_b32_e32 v89, v90
	;; [unrolled: 6-line block ×3, first 2 shown]
	v_mul_f32_e32 v14, 0x3f7e222b, v42
	v_pk_add_f32 v[66:67], v[66:67], v[88:89]
	v_fmamk_f32 v88, v42, 0xbf29c268, v43
	v_pk_add_f32 v[42:43], v[10:11], v[14:15] neg_lo:[0,1] neg_hi:[0,1]
	v_pk_add_f32 v[56:57], v[10:11], v[14:15]
	v_fmamk_f32 v10, v45, 0xbf7e222b, v24
	v_mov_b32_e32 v43, v56
	v_pk_add_f32 v[42:43], v[66:67], v[42:43]
	ds_write2_b32 v16, v42, v43 offset0:6 offset1:7
	v_pk_fma_f32 v[42:43], v[64:65], s[40:41], v[60:61]
	v_pk_fma_f32 v[56:57], v[58:59], s[42:43], v[62:63]
	v_pk_add_f32 v[42:43], v[70:71], v[42:43]
	v_add_f32_e32 v10, v7, v10
	v_pk_add_f32 v[42:43], v[42:43], v[56:57]
	v_fmamk_f32 v14, v35, 0xbe750f2a, v30
	v_pk_fma_f32 v[56:57], v[72:73], s[44:45], v[68:69]
	v_add_f32_e32 v10, v10, v14
	v_fmamk_f32 v14, v33, 0x3f6f5d39, v85
	v_pk_add_f32 v[42:43], v[42:43], v[56:57]
	v_pk_fma_f32 v[56:57], v[76:77], s[46:47], v[74:75]
	v_add_f32_e32 v10, v10, v14
	v_fmamk_f32 v14, v29, 0x3eedf032, v92
	v_pk_add_f32 v[42:43], v[42:43], v[56:57]
	;; [unrolled: 4-line block ×3, first 2 shown]
	v_pk_fma_f32 v[56:57], v[82:83], s[50:51], v[86:87]
	v_add_f32_e32 v10, v10, v14
	v_pk_add_f32 v[42:43], v[42:43], v[56:57]
	v_add_f32_e32 v14, v10, v88
	v_mov_b32_e32 v10, v43
	ds_write2_b32 v16, v43, v42 offset0:8 offset1:9
	ds_write_b32 v16, v14 offset:40
	ds_write2_b32 v16, v0, v1 offset0:11 offset1:12
.LBB0_13:
	s_or_b64 exec, exec, s[38:39]
	v_pk_mul_f32 v[82:83], v[44:45], s[24:25] op_sel_hi:[0,1]
	v_pk_add_f32 v[66:67], v[12:13], v[6:7] neg_lo:[0,1] neg_hi:[0,1]
	v_pk_fma_f32 v[6:7], v[54:55], s[4:5], v[82:83] op_sel:[1,0,0] neg_lo:[0,0,1] neg_hi:[0,0,1]
	v_pk_mul_f32 v[80:81], v[34:35], s[26:27] op_sel_hi:[0,1]
	v_pk_add_f32 v[64:65], v[8:9], v[40:41]
	v_pk_add_f32 v[6:7], v[40:41], v[6:7] op_sel:[1,0]
	v_pk_fma_f32 v[8:9], v[52:53], s[12:13], v[80:81] op_sel:[1,0,0] neg_lo:[0,0,1] neg_hi:[0,0,1]
	v_pk_mul_f32 v[78:79], v[32:33], s[28:29] op_sel_hi:[0,1]
	v_pk_add_f32 v[6:7], v[6:7], v[8:9]
	v_pk_fma_f32 v[8:9], v[50:51], s[14:15], v[78:79] op_sel:[1,0,0] neg_lo:[0,0,1] neg_hi:[0,0,1]
	v_pk_mul_f32 v[76:77], v[28:29], s[30:31] op_sel_hi:[0,1]
	v_pk_add_f32 v[6:7], v[6:7], v[8:9]
	;; [unrolled: 3-line block ×3, first 2 shown]
	v_pk_fma_f32 v[8:9], v[46:47], s[18:19], v[74:75] op_sel:[1,0,0] neg_lo:[0,0,1] neg_hi:[0,0,1]
	v_lshl_add_u32 v85, v84, 2, 0
	v_pk_add_f32 v[6:7], v[6:7], v[8:9]
	v_add_u32_e32 v8, 0x400, v85
	v_add_u32_e32 v10, 0xa00, v85
	;; [unrolled: 1-line block ×4, first 2 shown]
	s_waitcnt lgkmcnt(0)
	s_barrier
	ds_read2_b32 v[42:43], v85 offset1:169
	ds_read2_b32 v[56:57], v8 offset0:82 offset1:251
	ds_read2_b32 v[58:59], v10 offset0:36 offset1:205
	;; [unrolled: 1-line block ×4, first 2 shown]
	ds_read_b32 v9, v85 offset:6760
	v_pk_mul_f32 v[72:73], v[66:67], s[36:37] op_sel_hi:[0,1]
	v_pk_fma_f32 v[68:69], v[64:65], s[22:23], v[72:73] op_sel_hi:[0,1,1] neg_lo:[0,0,1] neg_hi:[0,0,1]
	v_pk_add_f32 v[6:7], v[6:7], v[68:69]
	s_waitcnt lgkmcnt(0)
	s_barrier
	s_and_saveexec_b64 s[24:25], s[0:1]
	s_cbranch_execz .LBB0_15
; %bb.14:
	v_pk_add_f32 v[18:19], v[40:41], v[18:19]
	v_pk_mul_f32 v[86:87], v[54:55], s[4:5] op_sel:[1,0]
	v_pk_add_f32 v[18:19], v[18:19], v[20:21]
	v_pk_mul_f32 v[90:91], v[52:53], s[12:13] op_sel:[1,0]
	;; [unrolled: 2-line block ×4, first 2 shown]
	v_pk_add_f32 v[18:19], v[18:19], v[38:39]
	v_mov_b32_e32 v38, v13
	v_mov_b32_e32 v18, v19
	;; [unrolled: 1-line block ×4, first 2 shown]
	v_pk_add_f32 v[18:19], v[18:19], v[38:39]
	v_pk_add_f32 v[38:39], v[90:91], v[80:81]
	;; [unrolled: 1-line block ×3, first 2 shown]
	v_mov_b32_e32 v38, v31
	v_pk_add_f32 v[18:19], v[38:39], v[18:19]
	v_pk_add_f32 v[38:39], v[94:95], v[78:79]
	v_pk_mul_f32 v[20:21], v[46:47], s[18:19] op_sel:[1,0]
	v_mov_b32_e32 v38, v25
	v_pk_add_f32 v[18:19], v[38:39], v[18:19]
	v_pk_add_f32 v[38:39], v[98:99], v[76:77]
	s_mov_b32 s1, 0x3df6dbef
	v_mul_f32_e32 v54, 0xbf7e222b, v44
	v_mov_b32_e32 v38, v17
	v_mul_f32_e32 v52, 0x3df6dbef, v55
	v_fma_f32 v16, v55, s1, -v54
	s_mov_b32 s5, 0xbf788fa5
	v_mul_f32_e32 v13, 0xbe750f2a, v34
	v_pk_add_f32 v[18:19], v[38:39], v[18:19]
	v_pk_add_f32 v[38:39], v[20:21], v[74:75]
	v_pk_mul_f32 v[36:37], v[64:65], s[22:23] op_sel_hi:[0,1]
	v_add_f32_e32 v30, v41, v16
	v_fma_f32 v31, v53, s5, -v13
	s_mov_b32 s18, 0xbeb58ec6
	v_mul_f32_e32 v17, 0x3f6f5d39, v32
	v_mov_b32_e32 v38, v11
	v_mov_b32_e32 v87, v52
	v_mov_b32_e32 v83, v54
	v_mov_b32_e32 v70, v55
	v_mov_b32_e32 v71, v55
	v_mov_b32_e32 v68, v41
	v_mov_b32_e32 v69, v41
	v_mul_f32_e32 v16, 0xbf788fa5, v55
	v_add_f32_e32 v31, v30, v31
	v_mul_f32_e32 v91, 0xbf788fa5, v53
	s_mov_b32 s14, 0x3f62ad3f
	s_mov_b32 s19, 0xbf3f9e67
	v_fma_f32 v25, v51, s18, -v17
	v_pk_add_f32 v[18:19], v[38:39], v[18:19]
	v_pk_add_f32 v[38:39], v[36:37], v[72:73]
	v_mul_f32_e32 v11, 0x3eedf032, v28
	v_pk_add_f32 v[54:55], v[86:87], v[82:83]
	v_mov_b32_e32 v81, v13
	s_mov_b32 s15, 0x3f116cb1
	v_add_f32_e32 v25, v31, v25
	v_mul_f32_e32 v95, 0xbeb58ec6, v51
	v_mov_b32_e32 v38, v15
	v_fma_f32 v15, v49, s14, -v11
	v_pk_add_f32 v[54:55], v[68:69], v[54:55]
	v_pk_add_f32 v[80:81], v[90:91], v[80:81]
	v_mov_b32_e32 v79, v17
	v_add_f32_e32 v15, v25, v15
	v_mul_f32_e32 v99, 0x3f62ad3f, v49
	v_pk_add_f32 v[18:19], v[38:39], v[18:19]
	v_mul_f32_e32 v25, 0xbf52af12, v26
	v_mul_f32_e32 v39, 0x3f116cb1, v47
	v_pk_add_f32 v[54:55], v[54:55], v[80:81]
	v_pk_add_f32 v[78:79], v[94:95], v[78:79]
	v_mov_b32_e32 v77, v11
	v_fma_f32 v37, v47, s15, -v25
	v_pk_add_f32 v[54:55], v[54:55], v[78:79]
	v_pk_add_f32 v[76:77], v[98:99], v[76:77]
	v_mov_b32_e32 v21, v39
	v_mov_b32_e32 v75, v25
	s_mov_b32 s22, 0xbf6f5d39
	v_add_f32_e32 v15, v15, v37
	v_mul_f32_e32 v37, 0xbf3f9e67, v64
	v_mul_f32_e32 v73, 0xbf29c268, v66
	v_pk_add_f32 v[54:55], v[54:55], v[76:77]
	v_pk_add_f32 v[20:21], v[20:21], v[74:75]
	v_mov_b32_e32 v45, v44
	s_mov_b32 s23, 0xbf29c268
	v_pk_add_f32 v[20:21], v[54:55], v[20:21]
	v_pk_add_f32 v[36:37], v[36:37], v[72:73]
	s_mov_b32 s28, 0x3f29c268
	v_mov_b32_e32 v35, v34
	s_mov_b32 s20, 0x3eedf032
	v_pk_add_f32 v[20:21], v[20:21], v[36:37]
	v_pk_mul_f32 v[36:37], v[44:45], s[22:23]
	s_mov_b32 s29, 0x3f7e222b
	v_mov_b32_e32 v88, v53
	v_mov_b32_e32 v89, v53
	;; [unrolled: 1-line block ×3, first 2 shown]
	s_mov_b32 s12, 0xbf7e222b
	v_mul_f32_e32 v24, 0xbe750f2a, v44
	s_mov_b32 s21, 0xbf52af12
	v_mul_f32_e32 v40, 0x3eedf032, v34
	v_pk_fma_f32 v[44:45], v[70:71], s[18:19], v[36:37]
	s_mov_b32 s0, s19
	v_pk_mul_f32 v[34:35], v[34:35], s[28:29]
	v_pk_fma_f32 v[36:37], v[70:71], s[18:19], v[36:37] neg_lo:[0,0,1] neg_hi:[0,0,1]
	v_mov_b32_e32 v92, v51
	v_mov_b32_e32 v93, v51
	;; [unrolled: 1-line block ×3, first 2 shown]
	s_mov_b32 s13, 0x3e750f2a
	v_mul_f32_e32 v48, 0xbf29c268, v32
	v_pk_add_f32 v[44:45], v[68:69], v[44:45]
	v_pk_fma_f32 v[54:55], v[88:89], s[0:1], v[34:35]
	v_pk_mul_f32 v[32:33], v[32:33], s[20:21]
	v_pk_add_f32 v[36:37], v[68:69], v[36:37]
	v_pk_fma_f32 v[34:35], v[88:89], s[0:1], v[34:35] neg_lo:[0,0,1] neg_hi:[0,0,1]
	v_mov_b32_e32 v96, v49
	v_mov_b32_e32 v97, v49
	v_mul_f32_e32 v38, 0x3f52af12, v28
	v_pk_add_f32 v[44:45], v[44:45], v[54:55]
	v_pk_fma_f32 v[54:55], v[92:93], s[14:15], v[32:33]
	s_mov_b32 s4, s1
	v_pk_mul_f32 v[28:29], v[28:29], s[12:13]
	v_pk_add_f32 v[34:35], v[36:37], v[34:35]
	v_pk_fma_f32 v[32:33], v[92:93], s[14:15], v[32:33] neg_lo:[0,0,1] neg_hi:[0,0,1]
	v_pk_add_f32 v[44:45], v[44:45], v[54:55]
	v_pk_fma_f32 v[54:55], v[96:97], s[4:5], v[28:29]
	v_pk_add_f32 v[32:33], v[34:35], v[32:33]
	v_pk_fma_f32 v[28:29], v[96:97], s[4:5], v[28:29] neg_lo:[0,0,1] neg_hi:[0,0,1]
	v_mul_f32_e32 v30, 0x3f62ad3f, v53
	v_pk_add_f32 v[28:29], v[32:33], v[28:29]
	v_pk_add_f32 v[32:33], v[16:17], v[24:25]
	v_pk_add_f32 v[16:17], v[16:17], v[24:25] neg_lo:[0,1] neg_hi:[0,1]
	v_pk_add_f32 v[24:25], v[30:31], v[40:41]
	v_mov_b32_e32 v33, v16
	v_pk_add_f32 v[30:31], v[30:31], v[40:41] neg_lo:[0,1] neg_hi:[0,1]
	v_mul_f32_e32 v46, 0xbf3f9e67, v51
	v_pk_add_f32 v[16:17], v[68:69], v[32:33]
	v_mov_b32_e32 v25, v30
	v_mov_b32_e32 v27, v26
	s_mov_b32 s12, s13
	s_mov_b32 s13, s20
	v_pk_add_f32 v[16:17], v[16:17], v[24:25]
	v_pk_add_f32 v[24:25], v[46:47], v[48:49]
	v_pk_add_f32 v[30:31], v[46:47], v[48:49] neg_lo:[0,1] neg_hi:[0,1]
	v_mov_b32_e32 v100, v47
	v_mov_b32_e32 v101, v47
	v_mul_f32_e32 v50, 0x3f116cb1, v49
	v_mul_f32_e32 v82, 0xbf6f5d39, v26
	s_mov_b32 s28, s5
	s_mov_b32 s29, s14
	v_pk_mul_f32 v[26:27], v[26:27], s[12:13]
	v_mov_b32_e32 v25, v30
	v_mov_b32_e32 v67, v66
	s_mov_b32 s26, 0x3f52af12
	v_pk_add_f32 v[44:45], v[44:45], v[54:55]
	v_pk_fma_f32 v[54:55], v[100:101], s[28:29], v[26:27]
	s_mov_b32 s27, s22
	v_pk_add_f32 v[16:17], v[16:17], v[24:25]
	v_pk_add_f32 v[24:25], v[50:51], v[38:39]
	v_pk_add_f32 v[30:31], v[50:51], v[38:39] neg_lo:[0,1] neg_hi:[0,1]
	v_mov_b32_e32 v22, v64
	v_mov_b32_e32 v23, v64
	v_mul_f32_e32 v52, 0xbeb58ec6, v47
	v_pk_add_f32 v[44:45], v[44:45], v[54:55]
	s_mov_b32 s12, s15
	s_mov_b32 s13, s18
	v_pk_mul_f32 v[54:55], v[66:67], s[26:27]
	v_pk_fma_f32 v[26:27], v[100:101], s[28:29], v[26:27] neg_lo:[0,0,1] neg_hi:[0,0,1]
	v_mov_b32_e32 v25, v30
	v_fma_f32 v11, v64, s19, -v73
	v_pk_fma_f32 v[72:73], v[22:23], s[12:13], v[54:55]
	v_pk_add_f32 v[26:27], v[28:29], v[26:27]
	v_pk_fma_f32 v[22:23], v[22:23], s[12:13], v[54:55] neg_lo:[0,0,1] neg_hi:[0,0,1]
	v_pk_add_f32 v[16:17], v[16:17], v[24:25]
	v_pk_add_f32 v[24:25], v[52:53], v[82:83]
	v_pk_add_f32 v[30:31], v[52:53], v[82:83] neg_lo:[0,1] neg_hi:[0,1]
	v_pk_add_f32 v[22:23], v[26:27], v[22:23]
	v_mul_f32_e32 v26, 0x3df6dbef, v64
	v_mul_f32_e32 v28, 0x3f7e222b, v66
	v_mov_b32_e32 v25, v30
	v_pk_add_f32 v[16:17], v[16:17], v[24:25]
	v_pk_add_f32 v[24:25], v[26:27], v[28:29]
	v_pk_add_f32 v[26:27], v[26:27], v[28:29] neg_lo:[0,1] neg_hi:[0,1]
	v_add_f32_e32 v13, v15, v11
	v_mov_b32_e32 v25, v26
	v_mad_u32_u24 v15, v84, 48, v85
	v_pk_add_f32 v[44:45], v[44:45], v[72:73]
	v_pk_add_f32 v[16:17], v[16:17], v[24:25]
	ds_write2_b32 v15, v18, v19 offset1:1
	ds_write2_b32 v15, v20, v21 offset0:2 offset1:3
	ds_write2_b32 v15, v44, v45 offset0:4 offset1:5
	;; [unrolled: 1-line block ×4, first 2 shown]
	ds_write_b32 v15, v13 offset:40
	ds_write2_b32 v15, v6, v7 offset0:11 offset1:12
.LBB0_15:
	s_or_b64 exec, exec, s[24:25]
	s_movk_i32 s4, 0x4f
	v_mul_lo_u16_sdwa v11, v84, s4 dst_sel:DWORD dst_unused:UNUSED_PAD src0_sel:BYTE_0 src1_sel:DWORD
	v_lshrrev_b16_e32 v90, 10, v11
	v_mul_lo_u16_e32 v11, 13, v90
	v_sub_u16_e32 v91, v84, v11
	v_mov_b32_e32 v11, 10
	v_mul_u32_u24_sdwa v11, v91, v11 dst_sel:DWORD dst_unused:UNUSED_PAD src0_sel:BYTE_0 src1_sel:DWORD
	v_lshlrev_b32_e32 v11, 3, v11
	s_load_dwordx2 s[0:1], s[10:11], 0x0
	s_waitcnt lgkmcnt(0)
	s_barrier
	global_load_dwordx4 v[16:19], v11, s[8:9]
	global_load_dwordx4 v[36:39], v11, s[8:9] offset:16
	global_load_dwordx4 v[32:35], v11, s[8:9] offset:32
	;; [unrolled: 1-line block ×4, first 2 shown]
	ds_read2_b32 v[22:23], v85 offset1:169
	ds_read2_b32 v[20:21], v8 offset0:82 offset1:251
	ds_read2_b32 v[26:27], v10 offset0:36 offset1:205
	;; [unrolled: 1-line block ×4, first 2 shown]
	ds_read_b32 v25, v85 offset:6760
	v_mov_b32_e32 v30, v61
	s_waitcnt lgkmcnt(3)
	v_mov_b32_e32 v41, v26
	v_mov_b32_e32 v31, v58
	s_waitcnt lgkmcnt(1)
	v_mov_b32_e32 v40, v15
	v_mov_b32_e32 v64, 0xbf75a155
	;; [unrolled: 1-line block ×3, first 2 shown]
	s_mov_b32 s18, 0x3ed4b147
	s_mov_b32 s21, 0xbf0a6770
	;; [unrolled: 1-line block ×22, first 2 shown]
	s_waitcnt lgkmcnt(0)
	s_barrier
	s_waitcnt vmcnt(4)
	v_mul_f32_e32 v10, v20, v19
	s_waitcnt vmcnt(3)
	v_mul_f32_e32 v24, v21, v37
	v_mul_f32_e32 v8, v23, v17
	;; [unrolled: 1-line block ×4, first 2 shown]
	s_waitcnt vmcnt(2)
	v_mul_f32_e32 v37, v27, v33
	v_mul_f32_e32 v49, v12, v35
	v_mul_f32_e32 v35, v62, v35
	v_mov_b32_e32 v51, v38
	v_mov_b32_e32 v72, v19
	;; [unrolled: 1-line block ×4, first 2 shown]
	s_waitcnt vmcnt(0)
	v_mov_b32_e32 v38, v53
	v_fma_f32 v48, v56, v18, -v10
	v_fma_f32 v10, v57, v36, -v24
	v_mov_b32_e32 v57, v58
	v_mul_f32_e32 v33, v59, v33
	v_mul_f32_e32 v66, v13, v45
	;; [unrolled: 1-line block ×3, first 2 shown]
	v_mov_b32_e32 v50, v18
	v_fmac_f32_e32 v17, v23, v16
	v_fmac_f32_e32 v29, v21, v36
	v_fma_f32 v15, v59, v32, -v37
	v_fma_f32 v19, v62, v34, -v49
	v_fmac_f32_e32 v35, v12, v34
	v_mul_f32_e32 v23, v13, v44
	v_mov_b32_e32 v21, v26
	v_pk_mul_f32 v[12:13], v[40:41], v[38:39]
	v_pk_mul_f32 v[38:39], v[56:57], v[72:73]
	v_mul_f32_e32 v69, v63, v45
	v_mul_f32_e32 v45, v14, v47
	;; [unrolled: 1-line block ×3, first 2 shown]
	v_mov_b32_e32 v65, v54
	v_mov_b32_e32 v54, 0xbe903f40
	;; [unrolled: 1-line block ×3, first 2 shown]
	v_fma_f32 v43, v43, v16, -v8
	v_fmac_f32_e32 v33, v27, v32
	v_add_f32_e32 v16, v22, v17
	v_sub_f32_e32 v8, v15, v19
	v_pk_fma_f32 v[50:51], v[20:21], v[50:51], v[38:39]
	v_mul_f32_e32 v28, v61, v53
	v_fmac_f32_e32 v11, v14, v46
	v_fma_f32 v53, v60, v46, -v45
	v_add_f32_e32 v14, v42, v43
	v_add_f32_e32 v24, v33, v35
	v_sub_f32_e32 v58, v33, v35
	v_pk_fma_f32 v[46:47], v[30:31], v[74:75], v[12:13] neg_lo:[0,0,1] neg_hi:[0,0,1]
	v_pk_mul_f32 v[12:13], v[8:9], v[54:55]
	v_add_f32_e32 v71, v16, v50
	v_mov_b32_e32 v59, v25
	v_fma_f32 v37, v63, v44, -v66
	v_add_f32_e32 v66, v15, v19
	v_add_f32_e32 v14, v14, v48
	v_pk_fma_f32 v[38:39], v[24:25], v[64:65], v[12:13]
	v_pk_add_f32 v[44:45], v[70:71], v[28:29]
	v_pk_mul_f32 v[56:57], v[58:59], v[54:55]
	v_pk_mul_f32 v[20:21], v[66:67], v[64:65]
	v_add_f32_e32 v49, v14, v10
	v_pk_fma_f32 v[40:41], v[24:25], v[64:65], v[12:13] neg_lo:[0,0,1] neg_hi:[0,0,1]
	v_pk_fma_f32 v[12:13], v[66:67], v[64:65], v[56:57] neg_lo:[0,0,1] neg_hi:[0,0,1]
	v_mov_b32_e32 v16, v50
	v_mov_b32_e32 v64, v44
	;; [unrolled: 1-line block ×3, first 2 shown]
	v_add_f32_e32 v32, v43, v13
	v_pk_add_f32 v[60:61], v[48:49], v[46:47]
	v_pk_add_f32 v[64:65], v[16:17], v[64:65] neg_lo:[0,1] neg_hi:[0,1]
	v_add_f32_e32 v30, v17, v39
	v_sub_f32_e32 v28, v43, v13
	v_mul_f32_e32 v18, 0x3f575c64, v32
	v_mov_b32_e32 v14, 0x3ed4b147
	v_pk_mul_f32 v[62:63], v[60:61], s[18:19]
	v_pk_mul_f32 v[16:17], v[64:65], s[20:21]
	v_mul_f32_e32 v9, 0xbf0a6770, v28
	v_pk_add_f32 v[14:15], v[60:61], v[14:15]
	v_mov_b32_e32 v63, v18
	v_mov_b32_e32 v18, v16
	v_fma_f32 v68, v30, s15, -v9
	v_fma_f32 v21, v32, s15, -v17
	v_pk_add_f32 v[14:15], v[14:15], v[18:19]
	v_pk_fma_f32 v[16:17], v[60:61], s[18:19], v[16:17] neg_lo:[0,0,1] neg_hi:[0,0,1]
	v_pk_add_f32 v[54:55], v[22:23], v[68:69]
	v_add_f32_e32 v36, v42, v21
	v_pk_fma_f32 v[62:63], v[64:65], s[20:21], v[62:63]
	v_mov_b32_e32 v17, v15
	v_add_f32_e32 v21, v42, v63
	v_pk_add_f32 v[14:15], v[16:17], v[36:37]
	v_mov_b32_e32 v16, v47
	v_mov_b32_e32 v17, v51
	;; [unrolled: 1-line block ×4, first 2 shown]
	v_add_f32_e32 v43, v62, v21
	v_pk_add_f32 v[62:63], v[16:17], v[18:19]
	v_pk_add_f32 v[18:19], v[16:17], v[18:19] neg_lo:[0,1] neg_hi:[0,1]
	v_mov_b32_e32 v16, v62
	v_mov_b32_e32 v17, v19
	v_sub_f32_e32 v26, v29, v11
	v_pk_mul_f32 v[68:69], v[16:17], s[22:23]
	v_mul_f32_e32 v27, 0xbf7d64f0, v26
	v_add_f32_e32 v34, v10, v53
	v_mov_b32_e32 v36, v69
	v_fma_f32 v52, v34, s19, -v27
	v_pk_fma_f32 v[16:17], v[16:17], s[22:23], v[36:37] neg_lo:[0,0,1] neg_hi:[0,0,1]
	v_pk_mul_f32 v[70:71], v[64:65], s[4:5] op_sel:[1,0]
	v_fmac_f32_e32 v27, 0xbe11bafb, v34
	v_pk_add_f32 v[14:15], v[14:15], v[52:53]
	v_mov_b32_e32 v17, v46
	v_pk_mul_f32 v[72:73], v[64:65], s[26:27] op_sel_hi:[0,1]
	v_pk_fma_f32 v[74:75], v[32:33], s[18:19], v[70:71] op_sel_hi:[0,1,1] neg_lo:[0,0,1] neg_hi:[0,0,1]
	v_pk_add_f32 v[14:15], v[14:15], v[16:17]
	v_pk_mul_f32 v[16:17], v[26:27], s[24:25] op_sel_hi:[0,1]
	s_mov_b32 s26, s13
	s_mov_b32 s27, s18
	v_pk_add_f32 v[74:75], v[42:43], v[74:75] op_sel_hi:[0,1]
	v_pk_fma_f32 v[76:77], v[60:61], s[12:13], v[72:73] op_sel_hi:[0,1,1] neg_lo:[0,0,1] neg_hi:[0,0,1]
	v_pk_add_f32 v[12:13], v[14:15], v[12:13]
	v_pk_fma_f32 v[14:15], v[34:35], s[26:27], v[16:17] op_sel_hi:[0,1,1] neg_lo:[0,0,1] neg_hi:[0,0,1]
	v_pk_add_f32 v[74:75], v[76:77], v[74:75]
	s_mov_b32 s20, 0x3f7d64f0
	v_pk_fma_f32 v[70:71], v[32:33], s[18:19], v[70:71] op_sel_hi:[0,1,1]
	v_pk_add_f32 v[14:15], v[14:15], v[74:75]
	v_pk_mul_f32 v[74:75], v[18:19], s[20:21] op_sel:[1,0]
	v_pk_add_f32 v[70:71], v[42:43], v[70:71] op_sel_hi:[0,1]
	v_pk_fma_f32 v[72:73], v[60:61], s[12:13], v[72:73] op_sel_hi:[0,1,1]
	v_pk_fma_f32 v[76:77], v[62:63], s[14:15], v[74:75] op_sel_hi:[0,1,1] neg_lo:[0,0,1] neg_hi:[0,0,1]
	s_mov_b32 s22, 0x3f0a6770
	v_pk_fma_f32 v[16:17], v[34:35], s[26:27], v[16:17] op_sel_hi:[0,1,1]
	v_pk_add_f32 v[70:71], v[72:73], v[70:71]
	v_pk_add_f32 v[14:15], v[76:77], v[14:15]
	v_pk_mul_f32 v[76:77], v[58:59], s[22:23] op_sel_hi:[0,1]
	v_pk_add_f32 v[16:17], v[16:17], v[70:71]
	v_pk_fma_f32 v[70:71], v[62:63], s[14:15], v[74:75] op_sel_hi:[0,1,1]
	v_pk_fma_f32 v[78:79], v[66:67], s[28:29], v[76:77] op_sel_hi:[0,1,1] neg_lo:[0,0,1] neg_hi:[0,0,1]
	v_pk_add_f32 v[16:17], v[70:71], v[16:17]
	v_pk_fma_f32 v[70:71], v[66:67], s[28:29], v[76:77] op_sel_hi:[0,1,1]
	s_mov_b32 s21, s22
	v_pk_add_f32 v[14:15], v[78:79], v[14:15]
	v_pk_add_f32 v[16:17], v[70:71], v[16:17]
	v_pk_mul_f32 v[70:71], v[26:27], s[30:31] op_sel_hi:[0,1]
	v_pk_mul_f32 v[72:73], v[64:65], s[10:11] op_sel:[1,0]
	v_pk_mul_f32 v[64:65], v[64:65], s[20:21] op_sel_hi:[0,1]
	v_pk_mul_f32 v[74:75], v[32:33], s[12:13] op_sel_hi:[0,1]
	;; [unrolled: 1-line block ×4, first 2 shown]
	v_pk_fma_f32 v[80:81], v[34:35], s[28:29], v[70:71] op_sel_hi:[0,1,1] neg_lo:[0,0,1] neg_hi:[0,0,1]
	v_pk_fma_f32 v[82:83], v[34:35], s[28:29], v[70:71] op_sel_hi:[0,1,1]
	v_add_f32_e32 v21, v74, v72
	v_mov_b32_e32 v79, v76
	v_mov_b32_e32 v71, v64
	v_add_f32_e32 v21, v42, v21
	v_pk_fma_f32 v[88:89], v[32:33], s[12:13], v[72:73] op_sel_hi:[0,1,1] neg_lo:[0,0,1] neg_hi:[0,0,1]
	v_pk_add_f32 v[70:71], v[78:79], v[70:71]
	v_pk_add_f32 v[88:89], v[42:43], v[88:89] op_sel_hi:[0,1]
	v_add_f32_e32 v21, v71, v21
	v_pk_fma_f32 v[60:61], v[60:61], s[14:15], v[64:65] op_sel_hi:[0,1,1] neg_lo:[0,0,1] neg_hi:[0,0,1]
	s_mov_b32 s24, s11
	v_pk_add_f32 v[60:61], v[60:61], v[88:89]
	v_add_f32_e32 v21, v70, v21
	v_pk_mul_f32 v[70:71], v[18:19], s[24:25] op_sel:[1,0]
	v_pk_add_f32 v[60:61], v[80:81], v[60:61]
	v_pk_fma_f32 v[18:19], v[62:63], s[26:27], v[70:71] op_sel_hi:[0,1,1] neg_lo:[0,0,1] neg_hi:[0,0,1]
	s_mov_b32 s4, s25
	v_pk_mul_f32 v[86:87], v[62:63], s[26:27] op_sel_hi:[0,1]
	v_mov_b32_e32 v74, v77
	v_mov_b32_e32 v72, v65
	v_pk_add_f32 v[18:19], v[18:19], v[60:61]
	v_pk_mul_f32 v[60:61], v[66:67], s[18:19] op_sel_hi:[0,1]
	v_pk_mul_f32 v[58:59], v[58:59], s[4:5] op_sel_hi:[0,1]
	v_pk_add_f32 v[64:65], v[74:75], v[72:73]
	v_mov_b32_e32 v62, v60
	v_mov_b32_e32 v63, v86
	;; [unrolled: 1-line block ×4, first 2 shown]
	v_pk_add_f32 v[62:63], v[62:63], v[72:73]
	v_add_f32_e32 v23, v42, v65
	v_add_f32_e32 v21, v63, v21
	;; [unrolled: 1-line block ×3, first 2 shown]
	v_pk_fma_f32 v[62:63], v[66:67], s[18:19], v[58:59] op_sel_hi:[0,1,1] neg_lo:[0,0,1] neg_hi:[0,0,1]
	v_add_f32_e32 v64, v64, v23
	v_pk_add_f32 v[18:19], v[62:63], v[18:19]
	v_mov_b32_e32 v62, v83
	v_mov_b32_e32 v63, v68
	;; [unrolled: 1-line block ×5, first 2 shown]
	v_pk_add_f32 v[62:63], v[62:63], v[64:65]
	v_pk_add_f32 v[26:27], v[26:27], v[42:43]
	v_mov_b32_e32 v42, v61
	v_mov_b32_e32 v43, v20
	;; [unrolled: 1-line block ×5, first 2 shown]
	v_pk_add_f32 v[26:27], v[62:63], v[26:27]
	v_pk_add_f32 v[42:43], v[42:43], v[58:59]
	v_mul_u32_u24_e32 v20, 0x23c, v90
	v_lshlrev_b32_sdwa v23, v23, v91 dst_sel:DWORD dst_unused:UNUSED_PAD src0_sel:DWORD src1_sel:BYTE_0
	v_pk_add_f32 v[26:27], v[42:43], v[26:27]
	v_add3_u32 v23, 0, v20, v23
	ds_write2_b32 v23, v13, v12 offset1:13
	ds_write2_b32 v23, v14, v15 offset0:26 offset1:39
	ds_write2_b32 v23, v18, v19 offset0:52 offset1:65
	;; [unrolled: 1-line block ×4, first 2 shown]
	ds_write_b32 v23, v27 offset:520
	s_waitcnt lgkmcnt(0)
	s_barrier
	s_and_saveexec_b64 s[4:5], vcc
	s_xor_b64 s[4:5], exec, s[4:5]
	s_or_saveexec_b64 s[4:5], s[4:5]
	v_mov_b32_e32 v41, v39
	v_mul_f32_e32 v25, 0x3f575c64, v30
	s_xor_b64 exec, exec, s[4:5]
	s_cbranch_execz .LBB0_17
; %bb.16:
	v_add_u32_e32 v0, 0x400, v85
	ds_read2_b32 v[14:15], v0 offset0:30 offset1:173
	v_add_u32_e32 v0, 0x800, v85
	ds_read2_b32 v[18:19], v0 offset0:60 offset1:203
	v_add_u32_e32 v0, 0xc00, v85
	v_add_u32_e32 v1, 0x1600, v85
	ds_read2_b32 v[16:17], v85 offset1:143
	ds_read2_b32 v[42:43], v1 offset0:22 offset1:165
	ds_read2_b32 v[20:21], v0 offset0:90 offset1:233
	v_add_u32_e32 v0, 0x1100, v85
	ds_read2_b32 v[56:57], v0 offset0:56 offset1:199
	ds_read_b32 v1, v85 offset:6864
	s_waitcnt lgkmcnt(3)
	v_mov_b32_e32 v0, v43
	v_mov_b32_e32 v12, v17
	;; [unrolled: 1-line block ×3, first 2 shown]
	s_waitcnt lgkmcnt(2)
	v_mov_b32_e32 v26, v20
	v_mov_b32_e32 v27, v42
	s_waitcnt lgkmcnt(1)
	v_mov_b32_e32 v16, v57
	v_mov_b32_e32 v17, v56
.LBB0_17:
	s_or_b64 exec, exec, s[4:5]
	v_pk_add_f32 v[56:57], v[50:51], v[44:45]
	v_mov_b32_e32 v32, 0x3ed4b147
	v_sub_f32_e32 v50, v48, v46
	v_pk_add_f32 v[42:43], v[56:57], v[32:33]
	v_mul_f32_e32 v34, 0xbf68dda4, v50
	v_sub_f32_e32 v52, v10, v53
	v_pk_add_f32 v[42:43], v[42:43], v[34:35]
	v_pk_fma_f32 v[32:33], v[56:57], v[32:33], v[34:35] neg_lo:[0,0,1] neg_hi:[0,0,1]
	v_add_f32_e32 v20, v29, v11
	v_mul_f32_e32 v31, 0xbf7d64f0, v52
	s_mov_b32 s13, 0xbe11bafb
	v_mov_b32_e32 v33, v43
	v_fma_f32 v10, v20, s13, -v31
	v_pk_add_f32 v[32:33], v[32:33], v[54:55]
	v_mov_b32_e32 v46, v51
	v_mov_b32_e32 v36, v55
	v_pk_add_f32 v[10:11], v[32:33], v[10:11]
	v_pk_add_f32 v[32:33], v[46:47], v[36:37]
	v_pk_add_f32 v[34:35], v[46:47], v[36:37] neg_lo:[0,1] neg_hi:[0,1]
	s_mov_b32 s10, 0xbf75a155
	v_mul_f32_e32 v29, 0x3ed4b147, v56
	v_mov_b32_e32 v36, v32
	v_mov_b32_e32 v37, v35
	s_mov_b32 s15, 0xbf4178ce
	s_mov_b32 s14, 0xbf27a4f4
	v_add_f32_e32 v9, v9, v25
	s_mov_b32 s11, 0x3ed4b147
	v_pk_mul_f32 v[42:43], v[36:37], s[14:15]
	v_add_f32_e32 v9, v22, v9
	v_fmac_f32_e32 v29, 0xbf68dda4, v50
	v_fmac_f32_e32 v31, 0xbe11bafb, v20
	v_mov_b32_e32 v46, v43
	v_add_f32_e32 v9, v29, v9
	s_mov_b32 s12, s11
	s_mov_b32 s4, 0xbf68dda4
	s_mov_b32 s5, 0xbf7d64f0
	v_pk_fma_f32 v[36:37], v[36:37], s[14:15], v[46:47] neg_lo:[0,0,1] neg_hi:[0,0,1]
	v_add_f32_e32 v9, v31, v9
	v_add_f32_e32 v25, v43, v42
	v_pk_mul_f32 v[42:43], v[30:31], s[12:13] op_sel_hi:[0,1]
	s_mov_b32 s24, s14
	s_mov_b32 s25, s10
	v_mov_b32_e32 v37, v44
	v_add_f32_e32 v9, v25, v9
	s_mov_b32 s19, 0x3e903f40
	s_mov_b32 s18, s15
	v_pk_fma_f32 v[44:45], v[28:29], s[4:5], v[42:43] op_sel_hi:[0,1,1] neg_lo:[1,0,0] neg_hi:[1,0,0]
	v_pk_mul_f32 v[46:47], v[56:57], s[24:25] op_sel_hi:[0,1]
	v_pk_add_f32 v[10:11], v[10:11], v[36:37]
	v_add_f32_e32 v37, v38, v9
	v_pk_mul_f32 v[38:39], v[20:21], s[10:11] op_sel_hi:[0,1]
	s_mov_b32 s21, 0x3f68dda4
	s_mov_b32 s20, s19
	v_pk_add_f32 v[44:45], v[22:23], v[44:45] op_sel_hi:[0,1]
	v_pk_fma_f32 v[48:49], v[50:51], s[18:19], v[46:47] op_sel_hi:[0,1,1] neg_lo:[1,0,0] neg_hi:[1,0,0]
	v_pk_add_f32 v[10:11], v[10:11], v[40:41]
	v_pk_fma_f32 v[40:41], v[52:53], s[20:21], v[38:39] op_sel_hi:[0,1,1] neg_lo:[1,0,0] neg_hi:[1,0,0]
	s_mov_b32 s22, 0x3f7d64f0
	v_pk_add_f32 v[44:45], v[48:49], v[44:45]
	s_mov_b32 s27, 0x3f575c64
	s_mov_b32 s26, s13
	v_pk_fma_f32 v[42:43], v[28:29], s[4:5], v[42:43] op_sel_hi:[0,1,1]
	s_mov_b32 s23, 0xbf0a6770
	v_pk_add_f32 v[40:41], v[40:41], v[44:45]
	v_pk_mul_f32 v[44:45], v[32:33], s[26:27] op_sel_hi:[0,1]
	v_pk_add_f32 v[42:43], v[22:23], v[42:43] op_sel_hi:[0,1]
	v_pk_fma_f32 v[46:47], v[50:51], s[18:19], v[46:47] op_sel_hi:[0,1,1]
	v_pk_fma_f32 v[48:49], v[34:35], s[22:23], v[44:45] op_sel:[1,0,0] neg_lo:[1,0,0] neg_hi:[1,0,0]
	s_mov_b32 s28, s27
	s_mov_b32 s29, s14
	v_pk_fma_f32 v[38:39], v[52:53], s[20:21], v[38:39] op_sel_hi:[0,1,1]
	v_pk_add_f32 v[42:43], v[46:47], v[42:43]
	v_pk_add_f32 v[40:41], v[48:49], v[40:41]
	v_pk_mul_f32 v[48:49], v[24:25], s[28:29] op_sel_hi:[0,1]
	s_mov_b32 s14, 0x3f0a6770
	v_pk_add_f32 v[38:39], v[38:39], v[42:43]
	v_pk_fma_f32 v[42:43], v[34:35], s[22:23], v[44:45] op_sel:[1,0,0]
	s_mov_b32 s19, 0xbe903f40
	v_pk_mul_f32 v[30:31], v[30:31], s[24:25] op_sel_hi:[0,1]
	v_pk_fma_f32 v[54:55], v[8:9], s[14:15], v[48:49] op_sel_hi:[0,1,1] neg_lo:[1,0,0] neg_hi:[1,0,0]
	v_pk_add_f32 v[38:39], v[42:43], v[38:39]
	v_pk_fma_f32 v[42:43], v[8:9], s[14:15], v[48:49] op_sel_hi:[0,1,1]
	s_mov_b32 s30, s22
	s_mov_b32 s31, s14
	v_pk_fma_f32 v[44:45], v[28:29], s[18:19], v[30:31] op_sel_hi:[0,1,1] neg_lo:[1,0,0] neg_hi:[1,0,0]
	v_pk_mul_f32 v[46:47], v[56:57], s[26:27] op_sel_hi:[0,1]
	v_pk_fma_f32 v[28:29], v[28:29], s[18:19], v[30:31] op_sel_hi:[0,1,1]
	v_pk_add_f32 v[42:43], v[42:43], v[38:39]
	v_pk_add_f32 v[48:49], v[54:55], v[40:41]
	v_pk_mul_f32 v[38:39], v[20:21], s[28:29] op_sel_hi:[0,1]
	s_mov_b32 s14, s23
	v_pk_add_f32 v[44:45], v[22:23], v[44:45] op_sel_hi:[0,1]
	v_pk_fma_f32 v[54:55], v[50:51], s[30:31], v[46:47] op_sel_hi:[0,1,1] neg_lo:[1,0,0] neg_hi:[1,0,0]
	v_pk_add_f32 v[28:29], v[22:23], v[28:29] op_sel_hi:[0,1]
	v_pk_fma_f32 v[30:31], v[50:51], s[30:31], v[46:47] op_sel_hi:[0,1,1]
	v_pk_fma_f32 v[40:41], v[52:53], s[14:15], v[38:39] op_sel_hi:[0,1,1] neg_lo:[1,0,0] neg_hi:[1,0,0]
	s_mov_b32 s20, s19
	v_pk_add_f32 v[44:45], v[54:55], v[44:45]
	v_pk_mul_f32 v[32:33], v[32:33], s[10:11] op_sel_hi:[0,1]
	v_pk_fma_f32 v[38:39], v[52:53], s[14:15], v[38:39] op_sel_hi:[0,1,1]
	v_pk_add_f32 v[28:29], v[30:31], v[28:29]
	v_pk_add_f32 v[40:41], v[40:41], v[44:45]
	v_pk_fma_f32 v[44:45], v[34:35], s[20:21], v[32:33] op_sel:[1,0,0] neg_lo:[1,0,0] neg_hi:[1,0,0]
	v_pk_mul_f32 v[24:25], v[24:25], s[12:13] op_sel_hi:[0,1]
	s_mov_b32 s4, s21
	v_pk_add_f32 v[28:29], v[38:39], v[28:29]
	v_pk_fma_f32 v[30:31], v[34:35], s[20:21], v[32:33] op_sel:[1,0,0]
	v_pk_add_f32 v[40:41], v[44:45], v[40:41]
	v_pk_fma_f32 v[44:45], v[8:9], s[4:5], v[24:25] op_sel_hi:[0,1,1] neg_lo:[1,0,0] neg_hi:[1,0,0]
	v_pk_add_f32 v[28:29], v[30:31], v[28:29]
	v_pk_fma_f32 v[8:9], v[8:9], s[4:5], v[24:25] op_sel_hi:[0,1,1]
	v_pk_add_f32 v[50:51], v[8:9], v[28:29]
	v_pk_add_f32 v[52:53], v[44:45], v[40:41]
	s_waitcnt lgkmcnt(0)
	s_barrier
	ds_write2_b32 v23, v11, v37 offset1:13
	ds_write2_b32 v23, v42, v43 offset0:26 offset1:39
	ds_write2_b32 v23, v50, v51 offset0:52 offset1:65
	ds_write2_b32 v23, v53, v52 offset0:78 offset1:91
	ds_write2_b32 v23, v49, v48 offset0:104 offset1:117
	ds_write_b32 v23, v10 offset:520
	s_waitcnt lgkmcnt(0)
	s_barrier
	s_and_saveexec_b64 s[4:5], vcc
	s_xor_b64 s[4:5], exec, s[4:5]
	s_cbranch_execnz .LBB0_21
; %bb.18:
	s_andn2_saveexec_b64 s[4:5], s[4:5]
	s_cbranch_execnz .LBB0_22
.LBB0_19:
	s_or_b64 exec, exec, s[4:5]
	s_and_saveexec_b64 s[4:5], s[2:3]
	s_cbranch_execnz .LBB0_23
.LBB0_20:
	s_endpgm
.LBB0_21:
                                        ; implicit-def: $vgpr85
	s_andn2_saveexec_b64 s[4:5], s[4:5]
	s_cbranch_execz .LBB0_19
.LBB0_22:
	v_add_u32_e32 v6, 0x400, v85
	v_add_u32_e32 v7, 0x1600, v85
	ds_read2_b32 v[36:37], v85 offset1:143
	ds_read2_b32 v[42:43], v6 offset0:30 offset1:173
	v_add_u32_e32 v6, 0x800, v85
	ds_read2_b32 v[10:11], v7 offset0:22 offset1:165
	v_add_u32_e32 v7, 0x1100, v85
	;; [unrolled: 2-line block ×3, first 2 shown]
	ds_read2_b32 v[8:9], v7 offset0:56 offset1:199
	ds_read2_b32 v[22:23], v6 offset0:90 offset1:233
	ds_read_b32 v7, v85 offset:6864
	s_waitcnt lgkmcnt(4)
	v_mov_b32_e32 v6, v11
	v_mov_b32_e32 v11, v36
	s_waitcnt lgkmcnt(2)
	v_mov_b32_e32 v48, v9
	v_mov_b32_e32 v49, v8
	;; [unrolled: 3-line block ×3, first 2 shown]
	s_or_b64 exec, exec, s[4:5]
	s_and_saveexec_b64 s[4:5], s[2:3]
	s_cbranch_execz .LBB0_20
.LBB0_23:
	v_mul_lo_u32 v8, s1, v4
	v_mul_lo_u32 v9, s0, v5
	v_mad_u64_u32 v[4:5], s[0:1], s0, v4, 0
	v_add3_u32 v5, v5, v9, v8
	v_mul_u32_u24_e32 v8, 12, v84
	v_lshlrev_b32_e32 v8, 3, v8
	global_load_dwordx4 v[56:59], v8, s[8:9] offset:1088
	global_load_dwordx4 v[60:63], v8, s[8:9] offset:1072
	;; [unrolled: 1-line block ×6, first 2 shown]
	v_lshl_add_u64 v[4:5], v[4:5], 3, s[6:7]
	v_lshl_add_u64 v[30:31], v[2:3], 3, v[4:5]
	v_add_u32_e32 v5, 0x8f, v84
	v_mad_u64_u32 v[2:3], s[0:1], s16, v5, 0
	v_mov_b32_e32 v4, v3
	v_mad_u64_u32 v[4:5], s[0:1], s17, v5, v[4:5]
	v_mov_b32_e32 v3, v4
	v_add_u32_e32 v5, 0x11e, v84
	v_lshl_add_u64 v[78:79], v[2:3], 3, v[30:31]
	v_mad_u64_u32 v[2:3], s[0:1], s16, v5, 0
	v_mov_b32_e32 v4, v3
	v_mad_u64_u32 v[4:5], s[0:1], s17, v5, v[4:5]
	v_mov_b32_e32 v3, v4
	v_add_u32_e32 v5, 0x1ad, v84
	v_lshl_add_u64 v[54:55], v[2:3], 3, v[30:31]
	;; [unrolled: 6-line block ×4, first 2 shown]
	v_mad_u64_u32 v[2:3], s[0:1], s16, v5, 0
	v_mov_b32_e32 v4, v3
	v_mad_u64_u32 v[8:9], s[0:1], s16, v84, 0
	v_mad_u64_u32 v[4:5], s[0:1], s17, v5, v[4:5]
	v_mov_b32_e32 v20, v9
	v_mov_b32_e32 v3, v4
	v_add_u32_e32 v5, 0x35a, v84
	v_mad_u64_u32 v[22:23], s[0:1], s17, v84, v[20:21]
	v_lshl_add_u64 v[32:33], v[2:3], 3, v[30:31]
	v_mad_u64_u32 v[2:3], s[0:1], s16, v5, 0
	v_mov_b32_e32 v9, v22
	v_mov_b32_e32 v4, v3
	v_lshl_add_u64 v[76:77], v[8:9], 3, v[30:31]
	v_mad_u64_u32 v[4:5], s[0:1], s17, v5, v[4:5]
	v_add_u32_e32 v9, 0x3e9, v84
	v_mov_b32_e32 v3, v4
	v_mad_u64_u32 v[4:5], s[0:1], s16, v9, 0
	v_mov_b32_e32 v8, v5
	v_mad_u64_u32 v[8:9], s[0:1], s17, v9, v[8:9]
	v_add_u32_e32 v22, 0x478, v84
	v_mov_b32_e32 v5, v8
	v_mad_u64_u32 v[8:9], s[0:1], s16, v22, 0
	v_mov_b32_e32 v20, v9
	;; [unrolled: 5-line block ×6, first 2 shown]
	v_mad_u64_u32 v[80:81], s[0:1], s17, v36, v[20:21]
	v_mov_b32_e32 v45, v80
	v_lshl_add_u64 v[2:3], v[2:3], 3, v[30:31]
	v_lshl_add_u64 v[4:5], v[4:5], 3, v[30:31]
	;; [unrolled: 1-line block ×7, first 2 shown]
	s_waitcnt vmcnt(1) lgkmcnt(0)
	v_pk_mul_f32 v[44:45], v[6:7], v[70:71] op_sel:[1,0]
	v_pk_mul_f32 v[6:7], v[6:7], v[68:69] op_sel_hi:[0,1]
	v_pk_fma_f32 v[80:81], v[0:1], v[70:71], v[44:45] op_sel:[1,0,1] op_sel_hi:[1,1,0] neg_lo:[0,0,1] neg_hi:[0,0,1]
	v_pk_fma_f32 v[44:45], v[0:1], v[70:71], v[44:45] op_sel:[1,0,1] op_sel_hi:[1,1,0]
	v_pk_fma_f32 v[82:83], v[0:1], v[68:69], v[6:7] op_sel:[0,0,1] op_sel_hi:[1,1,0] neg_lo:[0,0,1] neg_hi:[0,0,1]
	v_pk_fma_f32 v[0:1], v[0:1], v[68:69], v[6:7] op_sel:[0,0,1] op_sel_hi:[0,1,0]
	s_waitcnt vmcnt(0)
	v_pk_mul_f32 v[6:7], v[10:11], v[74:75] op_sel_hi:[0,1]
	v_pk_fma_f32 v[84:85], v[26:27], v[74:75], v[6:7] op_sel:[1,0,1] op_sel_hi:[1,1,0] neg_lo:[0,0,1] neg_hi:[0,0,1]
	v_pk_fma_f32 v[6:7], v[26:27], v[74:75], v[6:7] op_sel:[1,0,1] op_sel_hi:[1,1,0]
	v_mov_b32_e32 v83, v1
	v_pk_mul_f32 v[0:1], v[42:43], v[40:41] op_sel_hi:[0,1]
	v_mov_b32_e32 v85, v7
	v_pk_mul_f32 v[6:7], v[42:43], v[64:65] op_sel:[1,0]
	v_pk_fma_f32 v[68:69], v[14:15], v[40:41], v[0:1] op_sel:[0,0,1] op_sel_hi:[1,1,0] neg_lo:[0,0,1] neg_hi:[0,0,1]
	v_pk_fma_f32 v[0:1], v[14:15], v[40:41], v[0:1] op_sel:[0,0,1] op_sel_hi:[0,1,0]
	v_pk_fma_f32 v[74:75], v[14:15], v[64:65], v[6:7] op_sel:[1,0,1] op_sel_hi:[1,1,0] neg_lo:[0,0,1] neg_hi:[0,0,1]
	v_pk_fma_f32 v[6:7], v[14:15], v[64:65], v[6:7] op_sel:[1,0,1] op_sel_hi:[1,1,0]
	v_pk_mul_f32 v[14:15], v[48:49], v[72:73] op_sel_hi:[0,1]
	v_pk_fma_f32 v[64:65], v[16:17], v[72:73], v[14:15] op_sel:[0,0,1] op_sel_hi:[1,1,0] neg_lo:[0,0,1] neg_hi:[0,0,1]
	v_pk_fma_f32 v[14:15], v[16:17], v[72:73], v[14:15] op_sel:[0,0,1] op_sel_hi:[0,1,0]
	v_mov_b32_e32 v65, v15
	v_pk_mul_f32 v[14:15], v[50:51], v[66:67] op_sel_hi:[0,1]
	v_pk_mul_f32 v[48:49], v[48:49], v[58:59] op_sel:[1,0]
	v_mov_b32_e32 v20, v37
	v_pk_fma_f32 v[72:73], v[18:19], v[66:67], v[14:15] op_sel:[0,0,1] op_sel_hi:[1,1,0] neg_lo:[0,0,1] neg_hi:[0,0,1]
	v_pk_fma_f32 v[14:15], v[18:19], v[66:67], v[14:15] op_sel:[0,0,1] op_sel_hi:[0,1,0]
	v_pk_fma_f32 v[66:67], v[16:17], v[58:59], v[48:49] op_sel:[1,0,1] op_sel_hi:[1,1,0] neg_lo:[0,0,1] neg_hi:[0,0,1]
	v_pk_fma_f32 v[16:17], v[16:17], v[58:59], v[48:49] op_sel:[1,0,1] op_sel_hi:[1,1,0]
	v_pk_mul_f32 v[36:37], v[20:21], v[38:39] op_sel_hi:[0,1]
	v_mov_b32_e32 v67, v17
	v_pk_mul_f32 v[16:17], v[50:51], v[60:61] op_sel:[1,0]
	v_pk_fma_f32 v[70:71], v[12:13], v[38:39], v[36:37] op_sel:[0,0,1] op_sel_hi:[1,1,0] neg_lo:[0,0,1] neg_hi:[0,0,1]
	v_pk_fma_f32 v[36:37], v[12:13], v[38:39], v[36:37] op_sel:[0,0,1] op_sel_hi:[0,1,0]
	v_pk_fma_f32 v[50:51], v[18:19], v[60:61], v[16:17] op_sel:[1,0,1] op_sel_hi:[1,1,0] neg_lo:[0,0,1] neg_hi:[0,0,1]
	v_pk_fma_f32 v[16:17], v[18:19], v[60:61], v[16:17] op_sel:[1,0,1] op_sel_hi:[1,1,0]
	v_mov_b32_e32 v10, v21
	v_mov_b32_e32 v12, v21
	v_pk_mul_f32 v[18:19], v[52:53], v[56:57] op_sel_hi:[0,1]
	v_mov_b32_e32 v81, v45
	v_mov_b32_e32 v71, v37
	v_pk_fma_f32 v[58:59], v[10:11], v[56:57], v[18:19] op_sel:[0,0,1] op_sel_hi:[1,1,0] neg_lo:[0,0,1] neg_hi:[0,0,1]
	v_pk_fma_f32 v[18:19], v[12:13], v[56:57], v[18:19] op_sel:[0,0,1] op_sel_hi:[0,1,0]
	v_pk_add_f32 v[38:39], v[70:71], v[80:81] neg_lo:[0,1] neg_hi:[0,1]
	v_mov_b32_e32 v69, v1
	v_mov_b32_e32 v59, v19
	v_pk_mul_f32 v[18:19], v[52:53], v[62:63] op_sel:[1,0]
	s_mov_b32 s0, 0xbeedf032
	v_pk_add_f32 v[36:37], v[70:71], v[80:81]
	v_pk_add_f32 v[40:41], v[68:69], v[82:83] neg_lo:[0,1] neg_hi:[0,1]
	v_pk_fma_f32 v[52:53], v[26:27], v[62:63], v[18:19] op_sel:[0,0,1] op_sel_hi:[1,1,0] neg_lo:[0,0,1] neg_hi:[0,0,1]
	v_pk_fma_f32 v[18:19], v[26:27], v[62:63], v[18:19] op_sel:[0,0,1] op_sel_hi:[0,1,0]
	s_mov_b32 s4, 0x3f62ad3f
	v_pk_mul_f32 v[26:27], v[38:39], s[0:1] op_sel:[1,0] op_sel_hi:[0,0]
	s_mov_b32 s18, 0xbf52af12
	v_mov_b32_e32 v10, v13
	v_pk_add_f32 v[0:1], v[68:69], v[82:83]
	v_mov_b32_e32 v75, v7
	s_mov_b32 s2, 0x3f116cb1
	v_pk_mul_f32 v[56:57], v[40:41], s[18:19] op_sel:[1,0] op_sel_hi:[0,0]
	v_pk_add_f32 v[70:71], v[10:11], v[70:71]
	v_pk_fma_f32 v[90:91], v[36:37], s[4:5], v[26:27] op_sel_hi:[1,0,1]
	v_pk_fma_f32 v[26:27], v[36:37], s[4:5], v[26:27] op_sel_hi:[1,0,1] neg_lo:[0,0,1] neg_hi:[0,0,1]
	v_pk_add_f32 v[42:43], v[74:75], v[84:85] neg_lo:[0,1] neg_hi:[0,1]
	s_mov_b32 s24, 0xbf7e222b
	v_mov_b32_e32 v12, v90
	v_mov_b32_e32 v13, v27
	v_pk_fma_f32 v[92:93], v[0:1], s[2:3], v[56:57] op_sel_hi:[1,0,1]
	v_pk_fma_f32 v[56:57], v[0:1], s[2:3], v[56:57] op_sel_hi:[1,0,1] neg_lo:[0,0,1] neg_hi:[0,0,1]
	v_pk_add_f32 v[68:69], v[70:71], v[68:69]
	v_pk_add_f32 v[6:7], v[74:75], v[84:85]
	v_mov_b32_e32 v73, v15
	s_mov_b32 s0, 0x3df6dbef
	v_pk_mul_f32 v[60:61], v[42:43], s[24:25] op_sel:[1,0] op_sel_hi:[0,0]
	v_pk_add_f32 v[12:13], v[10:11], v[12:13]
	v_mov_b32_e32 v94, v92
	v_mov_b32_e32 v95, v57
	v_pk_add_f32 v[68:69], v[68:69], v[74:75]
	v_pk_add_f32 v[44:45], v[72:73], v[64:65] neg_lo:[0,1] neg_hi:[0,1]
	v_mov_b32_e32 v51, v17
	s_mov_b32 s10, 0xbf6f5d39
	v_pk_add_f32 v[12:13], v[12:13], v[94:95]
	v_pk_fma_f32 v[94:95], v[6:7], s[0:1], v[60:61] op_sel_hi:[1,0,1]
	v_pk_fma_f32 v[60:61], v[6:7], s[0:1], v[60:61] op_sel_hi:[1,0,1] neg_lo:[0,0,1] neg_hi:[0,0,1]
	v_pk_add_f32 v[68:69], v[68:69], v[72:73]
	v_pk_add_f32 v[14:15], v[72:73], v[64:65]
	v_pk_add_f32 v[48:49], v[50:51], v[66:67] neg_lo:[0,1] neg_hi:[0,1]
	v_pk_add_f32 v[16:17], v[50:51], v[66:67]
	v_mov_b32_e32 v53, v19
	s_mov_b32 s6, 0xbeb58ec6
	v_pk_mul_f32 v[62:63], v[44:45], s[10:11] op_sel:[1,0] op_sel_hi:[0,0]
	v_mov_b32_e32 v96, v94
	v_mov_b32_e32 v97, v61
	v_pk_add_f32 v[50:51], v[68:69], v[50:51]
	s_mov_b32 s14, 0xbf29c268
	v_pk_add_f32 v[12:13], v[12:13], v[96:97]
	v_pk_fma_f32 v[96:97], v[14:15], s[6:7], v[62:63] op_sel_hi:[1,0,1]
	v_pk_fma_f32 v[62:63], v[14:15], s[6:7], v[62:63] op_sel_hi:[1,0,1] neg_lo:[0,0,1] neg_hi:[0,0,1]
	v_pk_add_f32 v[50:51], v[50:51], v[52:53]
	v_mov_b32_e32 v27, v91
	s_mov_b32 s8, 0xbf3f9e67
	v_pk_mul_f32 v[86:87], v[48:49], s[14:15] op_sel:[1,0] op_sel_hi:[0,0]
	v_mov_b32_e32 v98, v96
	v_mov_b32_e32 v99, v63
	v_pk_add_f32 v[50:51], v[50:51], v[58:59]
	v_pk_add_f32 v[26:27], v[10:11], v[26:27]
	v_mov_b32_e32 v57, v93
	v_pk_add_f32 v[20:21], v[52:53], v[58:59] neg_lo:[0,1] neg_hi:[0,1]
	s_mov_b32 s16, 0xbe750f2a
	v_pk_add_f32 v[12:13], v[12:13], v[98:99]
	v_pk_fma_f32 v[98:99], v[16:17], s[8:9], v[86:87] op_sel_hi:[1,0,1]
	v_pk_fma_f32 v[86:87], v[16:17], s[8:9], v[86:87] op_sel_hi:[1,0,1] neg_lo:[0,0,1] neg_hi:[0,0,1]
	v_pk_add_f32 v[50:51], v[66:67], v[50:51]
	v_pk_add_f32 v[26:27], v[26:27], v[56:57]
	v_mov_b32_e32 v61, v95
	v_pk_add_f32 v[18:19], v[52:53], v[58:59]
	s_mov_b32 s12, 0xbf788fa5
	v_pk_mul_f32 v[88:89], v[20:21], s[16:17] op_sel:[1,0] op_sel_hi:[0,0]
	v_mov_b32_e32 v100, v98
	v_mov_b32_e32 v101, v87
	v_pk_add_f32 v[50:51], v[64:65], v[50:51]
	v_pk_add_f32 v[26:27], v[26:27], v[60:61]
	v_mov_b32_e32 v63, v97
	v_pk_add_f32 v[12:13], v[12:13], v[100:101]
	v_pk_fma_f32 v[100:101], v[18:19], s[12:13], v[88:89] op_sel_hi:[1,0,1]
	v_pk_fma_f32 v[88:89], v[18:19], s[12:13], v[88:89] op_sel_hi:[1,0,1] neg_lo:[0,0,1] neg_hi:[0,0,1]
	v_pk_add_f32 v[50:51], v[84:85], v[50:51]
	v_pk_add_f32 v[26:27], v[26:27], v[62:63]
	v_mov_b32_e32 v87, v99
	v_mov_b32_e32 v103, v89
	v_pk_add_f32 v[50:51], v[82:83], v[50:51]
	v_pk_add_f32 v[26:27], v[26:27], v[86:87]
	v_mov_b32_e32 v89, v101
	v_pk_add_f32 v[50:51], v[80:81], v[50:51]
	v_pk_add_f32 v[26:27], v[26:27], v[88:89]
	global_store_dwordx2 v[76:77], v[50:51], off
	global_store_dwordx2 v[78:79], v[26:27], off
	v_pk_mul_f32 v[26:27], v[38:39], s[18:19] op_sel:[1,0] op_sel_hi:[0,0]
	v_pk_mul_f32 v[50:51], v[40:41], s[10:11] op_sel:[1,0] op_sel_hi:[0,0]
	v_pk_fma_f32 v[62:63], v[36:37], s[2:3], v[26:27] op_sel_hi:[1,0,1]
	v_pk_fma_f32 v[26:27], v[36:37], s[2:3], v[26:27] op_sel_hi:[1,0,1] neg_lo:[0,0,1] neg_hi:[0,0,1]
	v_mov_b32_e32 v64, v62
	v_mov_b32_e32 v65, v27
	v_pk_fma_f32 v[66:67], v[0:1], s[6:7], v[50:51] op_sel_hi:[1,0,1]
	v_pk_fma_f32 v[50:51], v[0:1], s[6:7], v[50:51] op_sel_hi:[1,0,1] neg_lo:[0,0,1] neg_hi:[0,0,1]
	v_pk_mul_f32 v[52:53], v[42:43], s[16:17] op_sel:[1,0] op_sel_hi:[0,0]
	v_pk_add_f32 v[64:65], v[10:11], v[64:65]
	v_mov_b32_e32 v68, v66
	v_mov_b32_e32 v69, v51
	s_mov_b32 s26, 0x3f29c268
	v_pk_add_f32 v[64:65], v[64:65], v[68:69]
	v_pk_fma_f32 v[68:69], v[6:7], s[12:13], v[52:53] op_sel_hi:[1,0,1]
	v_pk_fma_f32 v[52:53], v[6:7], s[12:13], v[52:53] op_sel_hi:[1,0,1] neg_lo:[0,0,1] neg_hi:[0,0,1]
	v_pk_mul_f32 v[56:57], v[44:45], s[26:27] op_sel:[1,0] op_sel_hi:[0,0]
	v_mov_b32_e32 v70, v68
	v_mov_b32_e32 v71, v53
	s_mov_b32 s20, 0x3f7e222b
	v_pk_add_f32 v[64:65], v[64:65], v[70:71]
	v_pk_fma_f32 v[70:71], v[14:15], s[8:9], v[56:57] op_sel_hi:[1,0,1]
	v_pk_fma_f32 v[56:57], v[14:15], s[8:9], v[56:57] op_sel_hi:[1,0,1] neg_lo:[0,0,1] neg_hi:[0,0,1]
	v_mov_b32_e32 v27, v63
	v_pk_mul_f32 v[58:59], v[48:49], s[20:21] op_sel:[1,0] op_sel_hi:[0,0]
	v_mov_b32_e32 v72, v70
	v_mov_b32_e32 v73, v57
	v_pk_add_f32 v[26:27], v[10:11], v[26:27]
	v_mov_b32_e32 v51, v67
	s_mov_b32 s22, 0x3eedf032
	v_pk_add_f32 v[64:65], v[64:65], v[72:73]
	v_pk_fma_f32 v[72:73], v[16:17], s[0:1], v[58:59] op_sel_hi:[1,0,1]
	v_pk_fma_f32 v[58:59], v[16:17], s[0:1], v[58:59] op_sel_hi:[1,0,1] neg_lo:[0,0,1] neg_hi:[0,0,1]
	v_pk_add_f32 v[26:27], v[26:27], v[50:51]
	v_mov_b32_e32 v53, v69
	v_pk_mul_f32 v[60:61], v[20:21], s[22:23] op_sel:[1,0] op_sel_hi:[0,0]
	v_mov_b32_e32 v74, v72
	v_mov_b32_e32 v75, v59
	v_pk_add_f32 v[26:27], v[26:27], v[52:53]
	v_mov_b32_e32 v57, v71
	v_pk_add_f32 v[64:65], v[64:65], v[74:75]
	v_pk_fma_f32 v[74:75], v[18:19], s[4:5], v[60:61] op_sel_hi:[1,0,1]
	v_pk_fma_f32 v[60:61], v[18:19], s[4:5], v[60:61] op_sel_hi:[1,0,1] neg_lo:[0,0,1] neg_hi:[0,0,1]
	v_pk_add_f32 v[26:27], v[26:27], v[56:57]
	v_mov_b32_e32 v59, v73
	v_mov_b32_e32 v77, v61
	v_pk_add_f32 v[26:27], v[26:27], v[58:59]
	v_mov_b32_e32 v61, v75
	v_pk_add_f32 v[26:27], v[26:27], v[60:61]
	global_store_dwordx2 v[54:55], v[26:27], off
	v_pk_mul_f32 v[26:27], v[38:39], s[24:25] op_sel:[1,0] op_sel_hi:[0,0]
	v_pk_mul_f32 v[50:51], v[40:41], s[16:17] op_sel:[1,0] op_sel_hi:[0,0]
	v_pk_fma_f32 v[60:61], v[36:37], s[0:1], v[26:27] op_sel_hi:[1,0,1]
	v_pk_fma_f32 v[26:27], v[36:37], s[0:1], v[26:27] op_sel_hi:[1,0,1] neg_lo:[0,0,1] neg_hi:[0,0,1]
	s_mov_b32 s28, 0x3f6f5d39
	v_mov_b32_e32 v62, v60
	v_mov_b32_e32 v63, v27
	v_pk_fma_f32 v[66:67], v[0:1], s[12:13], v[50:51] op_sel_hi:[1,0,1]
	v_pk_fma_f32 v[50:51], v[0:1], s[12:13], v[50:51] op_sel_hi:[1,0,1] neg_lo:[0,0,1] neg_hi:[0,0,1]
	v_pk_mul_f32 v[52:53], v[42:43], s[28:29] op_sel:[1,0] op_sel_hi:[0,0]
	v_pk_add_f32 v[62:63], v[10:11], v[62:63]
	v_mov_b32_e32 v68, v66
	v_mov_b32_e32 v69, v51
	v_pk_add_f32 v[62:63], v[62:63], v[68:69]
	v_pk_fma_f32 v[68:69], v[6:7], s[6:7], v[52:53] op_sel_hi:[1,0,1]
	v_pk_fma_f32 v[52:53], v[6:7], s[6:7], v[52:53] op_sel_hi:[1,0,1] neg_lo:[0,0,1] neg_hi:[0,0,1]
	v_pk_mul_f32 v[54:55], v[44:45], s[22:23] op_sel:[1,0] op_sel_hi:[0,0]
	v_mov_b32_e32 v70, v68
	v_mov_b32_e32 v71, v53
	v_pk_add_f32 v[62:63], v[62:63], v[70:71]
	v_pk_fma_f32 v[70:71], v[14:15], s[4:5], v[54:55] op_sel_hi:[1,0,1]
	v_pk_fma_f32 v[54:55], v[14:15], s[4:5], v[54:55] op_sel_hi:[1,0,1] neg_lo:[0,0,1] neg_hi:[0,0,1]
	v_mov_b32_e32 v27, v61
	v_pk_mul_f32 v[56:57], v[48:49], s[18:19] op_sel:[1,0] op_sel_hi:[0,0]
	v_mov_b32_e32 v72, v70
	v_mov_b32_e32 v73, v55
	v_pk_add_f32 v[26:27], v[10:11], v[26:27]
	v_mov_b32_e32 v51, v67
	v_pk_add_f32 v[62:63], v[62:63], v[72:73]
	v_pk_fma_f32 v[72:73], v[16:17], s[2:3], v[56:57] op_sel_hi:[1,0,1]
	v_pk_fma_f32 v[56:57], v[16:17], s[2:3], v[56:57] op_sel_hi:[1,0,1] neg_lo:[0,0,1] neg_hi:[0,0,1]
	v_pk_add_f32 v[26:27], v[26:27], v[50:51]
	v_mov_b32_e32 v53, v69
	v_mov_b32_e32 v76, v74
	v_pk_mul_f32 v[58:59], v[20:21], s[14:15] op_sel:[1,0] op_sel_hi:[0,0]
	v_mov_b32_e32 v74, v72
	v_mov_b32_e32 v75, v57
	v_pk_add_f32 v[26:27], v[26:27], v[52:53]
	v_mov_b32_e32 v55, v71
	v_pk_add_f32 v[62:63], v[62:63], v[74:75]
	v_pk_fma_f32 v[74:75], v[18:19], s[8:9], v[58:59] op_sel_hi:[1,0,1]
	v_pk_fma_f32 v[58:59], v[18:19], s[8:9], v[58:59] op_sel_hi:[1,0,1] neg_lo:[0,0,1] neg_hi:[0,0,1]
	v_pk_add_f32 v[26:27], v[26:27], v[54:55]
	v_mov_b32_e32 v57, v73
	v_pk_add_f32 v[64:65], v[64:65], v[76:77]
	v_mov_b32_e32 v77, v59
	v_pk_add_f32 v[26:27], v[26:27], v[56:57]
	v_mov_b32_e32 v59, v75
	v_pk_add_f32 v[26:27], v[26:27], v[58:59]
	global_store_dwordx2 v[46:47], v[26:27], off
	v_pk_mul_f32 v[26:27], v[38:39], s[10:11] op_sel:[1,0] op_sel_hi:[0,0]
	v_pk_mul_f32 v[46:47], v[40:41], s[26:27] op_sel:[1,0] op_sel_hi:[0,0]
	v_pk_fma_f32 v[58:59], v[36:37], s[6:7], v[26:27] op_sel_hi:[1,0,1]
	v_pk_fma_f32 v[26:27], v[36:37], s[6:7], v[26:27] op_sel_hi:[1,0,1] neg_lo:[0,0,1] neg_hi:[0,0,1]
	v_mov_b32_e32 v60, v58
	v_mov_b32_e32 v61, v27
	v_pk_fma_f32 v[66:67], v[0:1], s[8:9], v[46:47] op_sel_hi:[1,0,1]
	v_pk_fma_f32 v[46:47], v[0:1], s[8:9], v[46:47] op_sel_hi:[1,0,1] neg_lo:[0,0,1] neg_hi:[0,0,1]
	v_pk_mul_f32 v[50:51], v[42:43], s[22:23] op_sel:[1,0] op_sel_hi:[0,0]
	v_pk_add_f32 v[60:61], v[10:11], v[60:61]
	v_mov_b32_e32 v68, v66
	v_mov_b32_e32 v69, v47
	v_pk_add_f32 v[60:61], v[60:61], v[68:69]
	v_pk_fma_f32 v[68:69], v[6:7], s[4:5], v[50:51] op_sel_hi:[1,0,1]
	v_pk_fma_f32 v[50:51], v[6:7], s[4:5], v[50:51] op_sel_hi:[1,0,1] neg_lo:[0,0,1] neg_hi:[0,0,1]
	v_pk_mul_f32 v[52:53], v[44:45], s[24:25] op_sel:[1,0] op_sel_hi:[0,0]
	v_mov_b32_e32 v70, v68
	v_mov_b32_e32 v71, v51
	s_mov_b32 s26, 0x3e750f2a
	v_pk_add_f32 v[60:61], v[60:61], v[70:71]
	v_pk_fma_f32 v[70:71], v[14:15], s[0:1], v[52:53] op_sel_hi:[1,0,1]
	v_pk_fma_f32 v[52:53], v[14:15], s[0:1], v[52:53] op_sel_hi:[1,0,1] neg_lo:[0,0,1] neg_hi:[0,0,1]
	v_mov_b32_e32 v27, v59
	v_pk_mul_f32 v[54:55], v[48:49], s[26:27] op_sel:[1,0] op_sel_hi:[0,0]
	v_mov_b32_e32 v72, v70
	v_mov_b32_e32 v73, v53
	v_pk_add_f32 v[26:27], v[10:11], v[26:27]
	v_mov_b32_e32 v47, v67
	s_mov_b32 s24, 0x3f52af12
	v_pk_add_f32 v[60:61], v[60:61], v[72:73]
	v_pk_fma_f32 v[72:73], v[16:17], s[12:13], v[54:55] op_sel_hi:[1,0,1]
	v_pk_fma_f32 v[54:55], v[16:17], s[12:13], v[54:55] op_sel_hi:[1,0,1] neg_lo:[0,0,1] neg_hi:[0,0,1]
	v_pk_add_f32 v[26:27], v[26:27], v[46:47]
	v_mov_b32_e32 v51, v69
	v_mov_b32_e32 v76, v74
	v_pk_mul_f32 v[56:57], v[20:21], s[24:25] op_sel:[1,0] op_sel_hi:[0,0]
	v_mov_b32_e32 v74, v72
	v_mov_b32_e32 v75, v55
	v_pk_add_f32 v[26:27], v[26:27], v[50:51]
	v_mov_b32_e32 v53, v71
	v_pk_add_f32 v[60:61], v[60:61], v[74:75]
	v_pk_fma_f32 v[74:75], v[18:19], s[2:3], v[56:57] op_sel_hi:[1,0,1]
	v_pk_fma_f32 v[56:57], v[18:19], s[2:3], v[56:57] op_sel_hi:[1,0,1] neg_lo:[0,0,1] neg_hi:[0,0,1]
	v_pk_add_f32 v[26:27], v[26:27], v[52:53]
	v_mov_b32_e32 v55, v73
	v_pk_add_f32 v[62:63], v[62:63], v[76:77]
	v_mov_b32_e32 v77, v57
	;; [unrolled: 2-line block ×3, first 2 shown]
	v_pk_add_f32 v[26:27], v[26:27], v[56:57]
	global_store_dwordx2 v[34:35], v[26:27], off
	v_pk_mul_f32 v[26:27], v[38:39], s[14:15] op_sel:[1,0] op_sel_hi:[0,0]
	v_pk_mul_f32 v[34:35], v[40:41], s[20:21] op_sel:[1,0] op_sel_hi:[0,0]
	v_pk_fma_f32 v[56:57], v[36:37], s[8:9], v[26:27] op_sel_hi:[1,0,1]
	v_pk_fma_f32 v[26:27], v[36:37], s[8:9], v[26:27] op_sel_hi:[1,0,1] neg_lo:[0,0,1] neg_hi:[0,0,1]
	v_mov_b32_e32 v58, v56
	v_mov_b32_e32 v59, v27
	v_pk_fma_f32 v[66:67], v[0:1], s[0:1], v[34:35] op_sel_hi:[1,0,1]
	v_pk_fma_f32 v[34:35], v[0:1], s[0:1], v[34:35] op_sel_hi:[1,0,1] neg_lo:[0,0,1] neg_hi:[0,0,1]
	v_pk_mul_f32 v[46:47], v[42:43], s[18:19] op_sel:[1,0] op_sel_hi:[0,0]
	v_pk_add_f32 v[58:59], v[10:11], v[58:59]
	v_mov_b32_e32 v68, v66
	v_mov_b32_e32 v69, v35
	v_pk_add_f32 v[58:59], v[58:59], v[68:69]
	v_pk_fma_f32 v[68:69], v[6:7], s[2:3], v[46:47] op_sel_hi:[1,0,1]
	v_pk_fma_f32 v[46:47], v[6:7], s[2:3], v[46:47] op_sel_hi:[1,0,1] neg_lo:[0,0,1] neg_hi:[0,0,1]
	v_pk_mul_f32 v[50:51], v[44:45], s[26:27] op_sel:[1,0] op_sel_hi:[0,0]
	v_mov_b32_e32 v70, v68
	v_mov_b32_e32 v71, v47
	v_pk_add_f32 v[58:59], v[58:59], v[70:71]
	v_pk_fma_f32 v[70:71], v[14:15], s[12:13], v[50:51] op_sel_hi:[1,0,1]
	v_pk_fma_f32 v[50:51], v[14:15], s[12:13], v[50:51] op_sel_hi:[1,0,1] neg_lo:[0,0,1] neg_hi:[0,0,1]
	v_mov_b32_e32 v27, v57
	v_pk_mul_f32 v[52:53], v[48:49], s[22:23] op_sel:[1,0] op_sel_hi:[0,0]
	v_mov_b32_e32 v72, v70
	v_mov_b32_e32 v73, v51
	v_pk_add_f32 v[26:27], v[10:11], v[26:27]
	v_mov_b32_e32 v35, v67
	v_pk_add_f32 v[58:59], v[58:59], v[72:73]
	v_pk_fma_f32 v[72:73], v[16:17], s[4:5], v[52:53] op_sel_hi:[1,0,1]
	v_pk_fma_f32 v[52:53], v[16:17], s[4:5], v[52:53] op_sel_hi:[1,0,1] neg_lo:[0,0,1] neg_hi:[0,0,1]
	v_pk_add_f32 v[26:27], v[26:27], v[34:35]
	v_mov_b32_e32 v47, v69
	v_mov_b32_e32 v76, v74
	v_pk_mul_f32 v[54:55], v[20:21], s[10:11] op_sel:[1,0] op_sel_hi:[0,0]
	v_mov_b32_e32 v74, v72
	v_mov_b32_e32 v75, v53
	v_pk_add_f32 v[26:27], v[26:27], v[46:47]
	v_mov_b32_e32 v51, v71
	v_pk_add_f32 v[58:59], v[58:59], v[74:75]
	v_pk_fma_f32 v[74:75], v[18:19], s[6:7], v[54:55] op_sel_hi:[1,0,1]
	v_pk_fma_f32 v[54:55], v[18:19], s[6:7], v[54:55] op_sel_hi:[1,0,1] neg_lo:[0,0,1] neg_hi:[0,0,1]
	v_pk_add_f32 v[26:27], v[26:27], v[50:51]
	v_mov_b32_e32 v53, v73
	v_pk_add_f32 v[60:61], v[60:61], v[76:77]
	v_mov_b32_e32 v77, v55
	;; [unrolled: 2-line block ×3, first 2 shown]
	v_pk_add_f32 v[26:27], v[26:27], v[54:55]
	global_store_dwordx2 v[32:33], v[26:27], off
	v_pk_mul_f32 v[26:27], v[38:39], s[16:17] op_sel:[1,0] op_sel_hi:[0,0]
	v_pk_mul_f32 v[32:33], v[40:41], s[22:23] op_sel:[1,0] op_sel_hi:[0,0]
	;; [unrolled: 1-line block ×3, first 2 shown]
	v_pk_fma_f32 v[42:43], v[36:37], s[12:13], v[26:27] op_sel_hi:[1,0,1]
	v_pk_fma_f32 v[26:27], v[36:37], s[12:13], v[26:27] op_sel_hi:[1,0,1] neg_lo:[0,0,1] neg_hi:[0,0,1]
	v_pk_mul_f32 v[38:39], v[44:45], s[24:25] op_sel:[1,0] op_sel_hi:[0,0]
	v_mov_b32_e32 v36, v42
	v_mov_b32_e32 v37, v27
	v_pk_fma_f32 v[44:45], v[0:1], s[4:5], v[32:33] op_sel_hi:[1,0,1]
	v_pk_fma_f32 v[0:1], v[0:1], s[4:5], v[32:33] op_sel_hi:[1,0,1] neg_lo:[0,0,1] neg_hi:[0,0,1]
	v_pk_add_f32 v[36:37], v[10:11], v[36:37]
	v_mov_b32_e32 v32, v44
	v_mov_b32_e32 v33, v1
	v_pk_add_f32 v[32:33], v[36:37], v[32:33]
	v_pk_fma_f32 v[36:37], v[6:7], s[8:9], v[34:35] op_sel_hi:[1,0,1]
	v_pk_fma_f32 v[6:7], v[6:7], s[8:9], v[34:35] op_sel_hi:[1,0,1] neg_lo:[0,0,1] neg_hi:[0,0,1]
	v_mov_b32_e32 v34, v36
	v_mov_b32_e32 v35, v7
	v_pk_add_f32 v[32:33], v[32:33], v[34:35]
	v_pk_fma_f32 v[34:35], v[14:15], s[2:3], v[38:39] op_sel_hi:[1,0,1]
	v_pk_fma_f32 v[14:15], v[14:15], s[2:3], v[38:39] op_sel_hi:[1,0,1] neg_lo:[0,0,1] neg_hi:[0,0,1]
	v_mov_b32_e32 v27, v43
	v_pk_mul_f32 v[40:41], v[48:49], s[10:11] op_sel:[1,0] op_sel_hi:[0,0]
	v_mov_b32_e32 v38, v34
	v_mov_b32_e32 v39, v15
	v_pk_add_f32 v[10:11], v[10:11], v[26:27]
	v_mov_b32_e32 v1, v45
	v_pk_add_f32 v[32:33], v[32:33], v[38:39]
	v_pk_fma_f32 v[38:39], v[16:17], s[6:7], v[40:41] op_sel_hi:[1,0,1]
	v_pk_fma_f32 v[16:17], v[16:17], s[6:7], v[40:41] op_sel_hi:[1,0,1] neg_lo:[0,0,1] neg_hi:[0,0,1]
	v_pk_add_f32 v[0:1], v[10:11], v[0:1]
	v_mov_b32_e32 v7, v37
	v_pk_mul_f32 v[20:21], v[20:21], s[20:21] op_sel:[1,0] op_sel_hi:[0,0]
	v_mov_b32_e32 v40, v38
	v_mov_b32_e32 v41, v17
	v_pk_add_f32 v[0:1], v[0:1], v[6:7]
	v_mov_b32_e32 v15, v35
	v_pk_add_f32 v[32:33], v[32:33], v[40:41]
	v_pk_fma_f32 v[40:41], v[18:19], s[0:1], v[20:21] op_sel_hi:[1,0,1]
	v_pk_fma_f32 v[18:19], v[18:19], s[0:1], v[20:21] op_sel_hi:[1,0,1] neg_lo:[0,0,1] neg_hi:[0,0,1]
	v_pk_add_f32 v[0:1], v[0:1], v[14:15]
	v_mov_b32_e32 v17, v39
	v_mov_b32_e32 v21, v19
	v_pk_add_f32 v[0:1], v[0:1], v[16:17]
	v_mov_b32_e32 v19, v41
	v_mov_b32_e32 v102, v100
	;; [unrolled: 1-line block ×4, first 2 shown]
	v_pk_add_f32 v[0:1], v[0:1], v[18:19]
	v_pk_add_f32 v[12:13], v[12:13], v[102:103]
	;; [unrolled: 1-line block ×4, first 2 shown]
	global_store_dwordx2 v[2:3], v[0:1], off
	global_store_dwordx2 v[4:5], v[20:21], off
	;; [unrolled: 1-line block ×7, first 2 shown]
	s_endpgm
	.section	.rodata,"a",@progbits
	.p2align	6, 0x0
	.amdhsa_kernel fft_rtc_fwd_len1859_factors_13_11_13_wgs_169_tpt_169_halfLds_sp_op_CI_CI_sbrr_dirReg
		.amdhsa_group_segment_fixed_size 0
		.amdhsa_private_segment_fixed_size 0
		.amdhsa_kernarg_size 104
		.amdhsa_user_sgpr_count 2
		.amdhsa_user_sgpr_dispatch_ptr 0
		.amdhsa_user_sgpr_queue_ptr 0
		.amdhsa_user_sgpr_kernarg_segment_ptr 1
		.amdhsa_user_sgpr_dispatch_id 0
		.amdhsa_user_sgpr_kernarg_preload_length 0
		.amdhsa_user_sgpr_kernarg_preload_offset 0
		.amdhsa_user_sgpr_private_segment_size 0
		.amdhsa_uses_dynamic_stack 0
		.amdhsa_enable_private_segment 0
		.amdhsa_system_sgpr_workgroup_id_x 1
		.amdhsa_system_sgpr_workgroup_id_y 0
		.amdhsa_system_sgpr_workgroup_id_z 0
		.amdhsa_system_sgpr_workgroup_info 0
		.amdhsa_system_vgpr_workitem_id 0
		.amdhsa_next_free_vgpr 104
		.amdhsa_next_free_sgpr 54
		.amdhsa_accum_offset 104
		.amdhsa_reserve_vcc 1
		.amdhsa_float_round_mode_32 0
		.amdhsa_float_round_mode_16_64 0
		.amdhsa_float_denorm_mode_32 3
		.amdhsa_float_denorm_mode_16_64 3
		.amdhsa_dx10_clamp 1
		.amdhsa_ieee_mode 1
		.amdhsa_fp16_overflow 0
		.amdhsa_tg_split 0
		.amdhsa_exception_fp_ieee_invalid_op 0
		.amdhsa_exception_fp_denorm_src 0
		.amdhsa_exception_fp_ieee_div_zero 0
		.amdhsa_exception_fp_ieee_overflow 0
		.amdhsa_exception_fp_ieee_underflow 0
		.amdhsa_exception_fp_ieee_inexact 0
		.amdhsa_exception_int_div_zero 0
	.end_amdhsa_kernel
	.text
.Lfunc_end0:
	.size	fft_rtc_fwd_len1859_factors_13_11_13_wgs_169_tpt_169_halfLds_sp_op_CI_CI_sbrr_dirReg, .Lfunc_end0-fft_rtc_fwd_len1859_factors_13_11_13_wgs_169_tpt_169_halfLds_sp_op_CI_CI_sbrr_dirReg
                                        ; -- End function
	.section	.AMDGPU.csdata,"",@progbits
; Kernel info:
; codeLenInByte = 11376
; NumSgprs: 60
; NumVgprs: 104
; NumAgprs: 0
; TotalNumVgprs: 104
; ScratchSize: 0
; MemoryBound: 0
; FloatMode: 240
; IeeeMode: 1
; LDSByteSize: 0 bytes/workgroup (compile time only)
; SGPRBlocks: 7
; VGPRBlocks: 12
; NumSGPRsForWavesPerEU: 60
; NumVGPRsForWavesPerEU: 104
; AccumOffset: 104
; Occupancy: 4
; WaveLimiterHint : 1
; COMPUTE_PGM_RSRC2:SCRATCH_EN: 0
; COMPUTE_PGM_RSRC2:USER_SGPR: 2
; COMPUTE_PGM_RSRC2:TRAP_HANDLER: 0
; COMPUTE_PGM_RSRC2:TGID_X_EN: 1
; COMPUTE_PGM_RSRC2:TGID_Y_EN: 0
; COMPUTE_PGM_RSRC2:TGID_Z_EN: 0
; COMPUTE_PGM_RSRC2:TIDIG_COMP_CNT: 0
; COMPUTE_PGM_RSRC3_GFX90A:ACCUM_OFFSET: 25
; COMPUTE_PGM_RSRC3_GFX90A:TG_SPLIT: 0
	.text
	.p2alignl 6, 3212836864
	.fill 256, 4, 3212836864
	.type	__hip_cuid_909a3e4cc157637e,@object ; @__hip_cuid_909a3e4cc157637e
	.section	.bss,"aw",@nobits
	.globl	__hip_cuid_909a3e4cc157637e
__hip_cuid_909a3e4cc157637e:
	.byte	0                               ; 0x0
	.size	__hip_cuid_909a3e4cc157637e, 1

	.ident	"AMD clang version 19.0.0git (https://github.com/RadeonOpenCompute/llvm-project roc-6.4.0 25133 c7fe45cf4b819c5991fe208aaa96edf142730f1d)"
	.section	".note.GNU-stack","",@progbits
	.addrsig
	.addrsig_sym __hip_cuid_909a3e4cc157637e
	.amdgpu_metadata
---
amdhsa.kernels:
  - .agpr_count:     0
    .args:
      - .actual_access:  read_only
        .address_space:  global
        .offset:         0
        .size:           8
        .value_kind:     global_buffer
      - .offset:         8
        .size:           8
        .value_kind:     by_value
      - .actual_access:  read_only
        .address_space:  global
        .offset:         16
        .size:           8
        .value_kind:     global_buffer
      - .actual_access:  read_only
        .address_space:  global
        .offset:         24
        .size:           8
        .value_kind:     global_buffer
      - .actual_access:  read_only
        .address_space:  global
        .offset:         32
        .size:           8
        .value_kind:     global_buffer
      - .offset:         40
        .size:           8
        .value_kind:     by_value
      - .actual_access:  read_only
        .address_space:  global
        .offset:         48
        .size:           8
        .value_kind:     global_buffer
      - .actual_access:  read_only
        .address_space:  global
        .offset:         56
        .size:           8
        .value_kind:     global_buffer
      - .offset:         64
        .size:           4
        .value_kind:     by_value
      - .actual_access:  read_only
        .address_space:  global
        .offset:         72
        .size:           8
        .value_kind:     global_buffer
      - .actual_access:  read_only
        .address_space:  global
        .offset:         80
        .size:           8
        .value_kind:     global_buffer
      - .actual_access:  read_only
        .address_space:  global
        .offset:         88
        .size:           8
        .value_kind:     global_buffer
      - .actual_access:  write_only
        .address_space:  global
        .offset:         96
        .size:           8
        .value_kind:     global_buffer
    .group_segment_fixed_size: 0
    .kernarg_segment_align: 8
    .kernarg_segment_size: 104
    .language:       OpenCL C
    .language_version:
      - 2
      - 0
    .max_flat_workgroup_size: 169
    .name:           fft_rtc_fwd_len1859_factors_13_11_13_wgs_169_tpt_169_halfLds_sp_op_CI_CI_sbrr_dirReg
    .private_segment_fixed_size: 0
    .sgpr_count:     60
    .sgpr_spill_count: 0
    .symbol:         fft_rtc_fwd_len1859_factors_13_11_13_wgs_169_tpt_169_halfLds_sp_op_CI_CI_sbrr_dirReg.kd
    .uniform_work_group_size: 1
    .uses_dynamic_stack: false
    .vgpr_count:     104
    .vgpr_spill_count: 0
    .wavefront_size: 64
amdhsa.target:   amdgcn-amd-amdhsa--gfx950
amdhsa.version:
  - 1
  - 2
...

	.end_amdgpu_metadata
